;; amdgpu-corpus repo=ROCm/rocFFT kind=compiled arch=gfx1030 opt=O3
	.text
	.amdgcn_target "amdgcn-amd-amdhsa--gfx1030"
	.amdhsa_code_object_version 6
	.protected	bluestein_single_fwd_len546_dim1_sp_op_CI_CI ; -- Begin function bluestein_single_fwd_len546_dim1_sp_op_CI_CI
	.globl	bluestein_single_fwd_len546_dim1_sp_op_CI_CI
	.p2align	8
	.type	bluestein_single_fwd_len546_dim1_sp_op_CI_CI,@function
bluestein_single_fwd_len546_dim1_sp_op_CI_CI: ; @bluestein_single_fwd_len546_dim1_sp_op_CI_CI
; %bb.0:
	s_load_dwordx4 s[12:15], s[4:5], 0x28
	v_mul_u32_u24_e32 v1, 0x691, v0
	v_lshrrev_b32_e32 v1, 16, v1
	v_mad_u64_u32 v[98:99], null, s6, 3, v[1:2]
	v_mov_b32_e32 v99, 0
                                        ; kill: def $vgpr2 killed $sgpr0 killed $exec
	s_mov_b32 s0, exec_lo
	s_waitcnt lgkmcnt(0)
	v_cmpx_gt_u64_e64 s[12:13], v[98:99]
	s_cbranch_execz .LBB0_23
; %bb.1:
	s_clause 0x1
	s_load_dwordx4 s[8:11], s[4:5], 0x18
	s_load_dwordx2 s[6:7], s[4:5], 0x0
	v_mul_lo_u16 v1, v1, 39
	v_sub_nc_u16 v34, v0, v1
	v_and_b32_e32 v132, 0xffff, v34
	v_lshlrev_b32_e32 v30, 3, v132
	s_waitcnt lgkmcnt(0)
	s_load_dwordx4 s[0:3], s[8:9], 0x0
	s_clause 0x6
	global_load_dwordx2 v[109:110], v30, s[6:7]
	global_load_dwordx2 v[105:106], v30, s[6:7] offset:336
	global_load_dwordx2 v[107:108], v30, s[6:7] offset:672
	global_load_dwordx2 v[101:102], v30, s[6:7] offset:1008
	global_load_dwordx2 v[103:104], v30, s[6:7] offset:1344
	global_load_dwordx2 v[96:97], v30, s[6:7] offset:1680
	global_load_dwordx2 v[99:100], v30, s[6:7] offset:2016
	s_waitcnt lgkmcnt(0)
	v_mad_u64_u32 v[0:1], null, s2, v98, 0
	v_mad_u64_u32 v[2:3], null, s0, v132, 0
	v_add_co_u32 v82, s2, s6, v30
	s_mul_hi_u32 s6, s0, 42
	v_add_co_ci_u32_e64 v83, null, s7, 0, s2
	s_mul_i32 s2, s0, 42
	v_mad_u64_u32 v[4:5], null, s3, v98, v[1:2]
	s_mul_i32 s3, s1, 42
	s_add_i32 s3, s6, s3
	s_lshl_b64 s[6:7], s[2:3], 3
	v_mad_u64_u32 v[5:6], null, s1, v132, v[3:4]
	v_mov_b32_e32 v1, v4
	v_lshlrev_b64 v[0:1], 3, v[0:1]
	v_mov_b32_e32 v3, v5
	v_add_co_u32 v0, vcc_lo, s14, v0
	v_lshlrev_b64 v[2:3], 3, v[2:3]
	v_add_co_ci_u32_e32 v1, vcc_lo, s15, v1, vcc_lo
	v_add_co_u32 v0, vcc_lo, v0, v2
	v_add_co_ci_u32_e32 v1, vcc_lo, v1, v3, vcc_lo
	v_add_co_u32 v2, vcc_lo, v0, s6
	;; [unrolled: 2-line block ×4, first 2 shown]
	v_add_co_ci_u32_e32 v5, vcc_lo, s7, v3, vcc_lo
	s_clause 0x3
	global_load_dwordx2 v[90:91], v[80:81], off offset:304
	global_load_dwordx2 v[84:85], v[80:81], off offset:640
	;; [unrolled: 1-line block ×4, first 2 shown]
	v_add_co_u32 v6, vcc_lo, v4, s6
	v_add_co_ci_u32_e32 v7, vcc_lo, s7, v5, vcc_lo
	s_clause 0x1
	global_load_dwordx2 v[8:9], v[0:1], off
	global_load_dwordx2 v[10:11], v[2:3], off
	v_add_co_u32 v0, vcc_lo, v6, s6
	v_add_co_ci_u32_e32 v1, vcc_lo, s7, v7, vcc_lo
	s_clause 0x1
	global_load_dwordx2 v[4:5], v[4:5], off
	global_load_dwordx2 v[6:7], v[6:7], off
	v_add_co_u32 v2, vcc_lo, v0, s6
	v_add_co_ci_u32_e32 v3, vcc_lo, s7, v1, vcc_lo
	global_load_dwordx2 v[12:13], v[0:1], off
	v_add_co_u32 v0, vcc_lo, v2, s6
	v_add_co_ci_u32_e32 v1, vcc_lo, s7, v3, vcc_lo
	;; [unrolled: 3-line block ×8, first 2 shown]
	global_load_dwordx2 v[26:27], v[2:3], off
	s_clause 0x1
	global_load_dwordx2 v[92:93], v[80:81], off offset:1648
	global_load_dwordx2 v[94:95], v[80:81], off offset:1984
	global_load_dwordx2 v[28:29], v[0:1], off
	v_mul_hi_u32 v2, 0xaaaaaaab, v98
	s_load_dwordx2 s[2:3], s[4:5], 0x38
	s_load_dwordx4 s[8:11], s[10:11], 0x0
	v_cmp_gt_u16_e32 vcc_lo, 3, v34
	v_lshrrev_b32_e32 v2, 1, v2
	v_lshl_add_u32 v2, v2, 1, v2
	v_sub_nc_u32_e32 v2, v98, v2
	v_mul_u32_u24_e32 v2, 0x222, v2
	v_lshlrev_b32_e32 v133, 3, v2
	v_add_nc_u32_e32 v131, v30, v133
	v_add_nc_u32_e32 v2, 0x400, v131
	s_waitcnt vmcnt(14)
	v_mul_f32_e32 v30, v9, v110
	v_mul_f32_e32 v3, v8, v110
	s_waitcnt vmcnt(13)
	v_mul_f32_e32 v32, v11, v106
	v_mul_f32_e32 v33, v10, v106
	v_fmac_f32_e32 v30, v8, v109
	v_fma_f32 v31, v9, v109, -v3
	v_fmac_f32_e32 v32, v10, v105
	v_fma_f32 v33, v11, v105, -v33
	s_waitcnt vmcnt(12)
	v_mul_f32_e32 v8, v5, v108
	v_mul_f32_e32 v9, v4, v108
	s_waitcnt vmcnt(11)
	v_mul_f32_e32 v10, v7, v102
	v_add_nc_u32_e32 v3, 0x800, v131
	ds_write2_b64 v131, v[30:31], v[32:33] offset1:42
	v_fmac_f32_e32 v8, v4, v107
	v_fma_f32 v9, v5, v107, -v9
	v_mul_f32_e32 v5, v6, v102
	v_fmac_f32_e32 v10, v6, v101
	s_waitcnt vmcnt(10)
	v_mul_f32_e32 v4, v13, v104
	v_mul_f32_e32 v30, v12, v104
	s_waitcnt vmcnt(9)
	v_mul_f32_e32 v6, v15, v97
	v_mul_f32_e32 v31, v14, v97
	v_fma_f32 v11, v7, v101, -v5
	v_fmac_f32_e32 v4, v12, v103
	v_fma_f32 v5, v13, v103, -v30
	v_fmac_f32_e32 v6, v14, v96
	v_fma_f32 v7, v15, v96, -v31
	ds_write2_b64 v131, v[8:9], v[10:11] offset0:84 offset1:126
	s_waitcnt vmcnt(8)
	v_mul_f32_e32 v8, v17, v100
	v_mul_f32_e32 v9, v16, v100
	s_waitcnt vmcnt(7)
	v_mul_f32_e32 v10, v19, v91
	ds_write2_b64 v131, v[4:5], v[6:7] offset0:168 offset1:210
	v_mul_f32_e32 v5, v18, v91
	s_waitcnt vmcnt(6)
	v_mul_f32_e32 v4, v21, v85
	v_fmac_f32_e32 v8, v16, v99
	v_fma_f32 v9, v17, v99, -v9
	s_waitcnt vmcnt(5)
	v_mul_f32_e32 v6, v23, v89
	v_fma_f32 v11, v19, v90, -v5
	v_mul_f32_e32 v5, v20, v85
	v_mul_f32_e32 v7, v22, v89
	v_fmac_f32_e32 v10, v18, v90
	s_waitcnt vmcnt(4)
	v_mul_f32_e32 v12, v25, v87
	v_mul_f32_e32 v13, v24, v87
	v_fmac_f32_e32 v4, v20, v84
	s_waitcnt vmcnt(2)
	v_mul_f32_e32 v14, v27, v93
	v_mul_f32_e32 v15, v26, v93
	s_waitcnt vmcnt(0)
	v_mul_f32_e32 v16, v29, v95
	v_mul_f32_e32 v17, v28, v95
	v_fma_f32 v5, v21, v84, -v5
	v_fmac_f32_e32 v6, v22, v88
	v_fma_f32 v7, v23, v88, -v7
	v_fmac_f32_e32 v12, v24, v86
	;; [unrolled: 2-line block ×4, first 2 shown]
	v_fma_f32 v17, v29, v94, -v17
	ds_write2_b64 v2, v[8:9], v[10:11] offset0:124 offset1:166
	ds_write2_b64 v3, v[4:5], v[6:7] offset0:80 offset1:122
	;; [unrolled: 1-line block ×3, first 2 shown]
	ds_write_b64 v131, v[16:17] offset:4032
	s_and_saveexec_b32 s12, vcc_lo
	s_cbranch_execz .LBB0_3
; %bb.2:
	v_mad_u64_u32 v[0:1], null, 0xfffff178, s0, v[0:1]
	s_mulk_i32 s1, 0xf178
	s_clause 0x3
	global_load_dwordx2 v[10:11], v[82:83], off offset:312
	global_load_dwordx2 v[12:13], v[82:83], off offset:648
	;; [unrolled: 1-line block ×4, first 2 shown]
	s_sub_i32 s0, s1, s0
	v_add_nc_u32_e32 v1, s0, v1
	v_add_co_u32 v4, s0, v0, s6
	v_add_co_ci_u32_e64 v5, s0, s7, v1, s0
	v_add_co_u32 v6, s0, v4, s6
	global_load_dwordx2 v[0:1], v[0:1], off
	v_add_co_ci_u32_e64 v7, s0, s7, v5, s0
	v_add_co_u32 v8, s0, v6, s6
	v_add_co_ci_u32_e64 v9, s0, s7, v7, s0
	v_add_co_u32 v18, s0, v8, s6
	;; [unrolled: 2-line block ×3, first 2 shown]
	v_add_co_ci_u32_e64 v21, s0, s7, v19, s0
	global_load_dwordx2 v[4:5], v[4:5], off
	global_load_dwordx2 v[6:7], v[6:7], off
	global_load_dwordx2 v[8:9], v[8:9], off
	global_load_dwordx2 v[18:19], v[18:19], off
	global_load_dwordx2 v[22:23], v[20:21], off
	v_add_co_u32 v20, s0, v20, s6
	v_add_co_ci_u32_e64 v21, s0, s7, v21, s0
	s_clause 0x1
	global_load_dwordx2 v[24:25], v[82:83], off offset:1656
	global_load_dwordx2 v[26:27], v[82:83], off offset:1992
	v_add_co_u32 v28, s0, v20, s6
	v_add_co_ci_u32_e64 v29, s0, s7, v21, s0
	global_load_dwordx2 v[20:21], v[20:21], off
	v_add_co_u32 v30, s0, v28, s6
	v_add_co_ci_u32_e64 v31, s0, s7, v29, s0
	global_load_dwordx2 v[28:29], v[28:29], off
	;; [unrolled: 3-line block ×3, first 2 shown]
	v_add_co_u32 v34, s0, v32, s6
	v_add_co_ci_u32_e64 v35, s0, s7, v33, s0
	s_clause 0x2
	global_load_dwordx2 v[36:37], v[80:81], off offset:280
	global_load_dwordx2 v[38:39], v[80:81], off offset:616
	;; [unrolled: 1-line block ×3, first 2 shown]
	global_load_dwordx2 v[32:33], v[32:33], off
	global_load_dwordx2 v[42:43], v[34:35], off
	s_clause 0x1
	global_load_dwordx2 v[44:45], v[80:81], off offset:1288
	global_load_dwordx2 v[46:47], v[80:81], off offset:1624
	v_add_co_u32 v34, s0, v34, s6
	v_add_co_ci_u32_e64 v35, s0, s7, v35, s0
	v_add_co_u32 v48, s0, 0x1000, v82
	v_add_co_ci_u32_e64 v49, s0, 0, v83, s0
	;; [unrolled: 2-line block ×3, first 2 shown]
	global_load_dwordx2 v[34:35], v[34:35], off
	s_clause 0x1
	global_load_dwordx2 v[52:53], v[80:81], off offset:1960
	global_load_dwordx2 v[48:49], v[48:49], off offset:248
	global_load_dwordx2 v[50:51], v[50:51], off
	s_waitcnt vmcnt(21)
	v_mul_f32_e32 v54, v1, v11
	v_mul_f32_e32 v55, v0, v11
	v_fmac_f32_e32 v54, v0, v10
	v_fma_f32 v55, v1, v10, -v55
	s_waitcnt vmcnt(20)
	v_mul_f32_e32 v11, v5, v13
	v_mul_f32_e32 v1, v4, v13
	s_waitcnt vmcnt(19)
	v_mul_f32_e32 v0, v7, v15
	v_mul_f32_e32 v10, v6, v15
	s_waitcnt vmcnt(18)
	v_mul_f32_e32 v13, v8, v17
	v_fmac_f32_e32 v11, v4, v12
	v_mul_f32_e32 v4, v9, v17
	v_fma_f32 v12, v5, v12, -v1
	v_fmac_f32_e32 v0, v6, v14
	v_fma_f32 v1, v7, v14, -v10
	v_fma_f32 v5, v9, v16, -v13
	v_fmac_f32_e32 v4, v8, v16
	ds_write2_b64 v131, v[54:55], v[11:12] offset0:39 offset1:81
	s_waitcnt vmcnt(15)
	v_mul_f32_e32 v6, v19, v25
	v_mul_f32_e32 v7, v18, v25
	s_waitcnt vmcnt(14)
	v_mul_f32_e32 v8, v23, v27
	ds_write2_b64 v131, v[0:1], v[4:5] offset0:123 offset1:165
	v_mul_f32_e32 v1, v22, v27
	v_fmac_f32_e32 v6, v18, v24
	v_fma_f32 v7, v19, v24, -v7
	v_fmac_f32_e32 v8, v22, v26
	v_fma_f32 v9, v23, v26, -v1
	s_waitcnt vmcnt(10)
	v_mul_f32_e32 v5, v20, v37
	s_waitcnt vmcnt(9)
	v_mul_f32_e32 v11, v28, v39
	v_mul_f32_e32 v0, v21, v37
	;; [unrolled: 1-line block ×3, first 2 shown]
	s_waitcnt vmcnt(8)
	v_mul_f32_e32 v10, v31, v41
	v_fma_f32 v1, v21, v36, -v5
	v_fma_f32 v5, v29, v38, -v11
	v_mul_f32_e32 v11, v30, v41
	s_waitcnt vmcnt(5)
	v_mul_f32_e32 v12, v33, v45
	v_mul_f32_e32 v13, v32, v45
	s_waitcnt vmcnt(4)
	v_mul_f32_e32 v14, v43, v47
	v_mul_f32_e32 v15, v42, v47
	v_fmac_f32_e32 v0, v20, v36
	v_fmac_f32_e32 v4, v28, v38
	v_fmac_f32_e32 v10, v30, v40
	v_fma_f32 v11, v31, v40, -v11
	v_fmac_f32_e32 v12, v32, v44
	s_waitcnt vmcnt(2)
	v_mul_f32_e32 v16, v35, v53
	v_mul_f32_e32 v17, v34, v53
	s_waitcnt vmcnt(0)
	v_mul_f32_e32 v18, v51, v49
	v_mul_f32_e32 v19, v50, v49
	v_fma_f32 v13, v33, v44, -v13
	v_fmac_f32_e32 v14, v42, v46
	v_fma_f32 v15, v43, v46, -v15
	v_fmac_f32_e32 v16, v34, v52
	;; [unrolled: 2-line block ×3, first 2 shown]
	v_fma_f32 v19, v51, v48, -v19
	ds_write2_b64 v131, v[6:7], v[8:9] offset0:207 offset1:249
	ds_write2_b64 v3, v[0:1], v[4:5] offset0:35 offset1:77
	;; [unrolled: 1-line block ×4, first 2 shown]
	ds_write_b64 v131, v[18:19] offset:4344
.LBB0_3:
	s_or_b32 exec_lo, exec_lo, s12
	s_waitcnt lgkmcnt(0)
	s_barrier
	buffer_gl0_inv
	ds_read2_b64 v[46:49], v131 offset1:42
	ds_read2_b64 v[38:41], v131 offset0:84 offset1:126
	ds_read2_b64 v[30:33], v131 offset0:168 offset1:210
	;; [unrolled: 1-line block ×5, first 2 shown]
	ds_read_b64 v[12:13], v131 offset:4032
	v_mov_b32_e32 v22, 0
	v_mov_b32_e32 v23, 0
                                        ; kill: def $vgpr0 killed $sgpr0 killed $exec
                                        ; implicit-def: $vgpr2
                                        ; implicit-def: $vgpr4
                                        ; implicit-def: $vgpr18
                                        ; implicit-def: $vgpr50
                                        ; implicit-def: $vgpr10
                                        ; implicit-def: $vgpr16
	s_and_saveexec_b32 s0, vcc_lo
	s_cbranch_execz .LBB0_5
; %bb.4:
	v_add_nc_u32_e32 v18, 0x800, v131
	ds_read2_b64 v[22:25], v131 offset0:39 offset1:81
	ds_read2_b64 v[14:17], v131 offset0:123 offset1:165
	;; [unrolled: 1-line block ×6, first 2 shown]
	ds_read_b64 v[50:51], v131 offset:4344
.LBB0_5:
	s_or_b32 exec_lo, exec_lo, s0
	s_waitcnt lgkmcnt(6)
	v_add_f32_e32 v52, v46, v48
	v_add_f32_e32 v53, v47, v49
	s_waitcnt lgkmcnt(0)
	v_sub_f32_e32 v55, v49, v13
	v_add_co_u32 v74, s0, v132, 39
	v_add_f32_e32 v52, v52, v38
	v_add_f32_e32 v53, v53, v39
	v_add_co_ci_u32_e64 v54, null, 0, 0, s0
	v_add_f32_e32 v54, v12, v48
	v_add_f32_e32 v52, v52, v40
	;; [unrolled: 1-line block ×3, first 2 shown]
	v_sub_f32_e32 v48, v48, v12
	v_mul_f32_e32 v56, 0xbeedf032, v55
	v_mul_f32_e32 v60, 0xbf7e222b, v55
	v_add_f32_e32 v52, v52, v30
	v_add_f32_e32 v53, v53, v31
	;; [unrolled: 1-line block ×3, first 2 shown]
	v_mul_f32_e32 v57, 0xbeedf032, v48
	v_fma_f32 v62, 0x3f62ad3f, v54, -v56
	v_add_f32_e32 v52, v52, v32
	v_add_f32_e32 v53, v53, v33
	v_fmac_f32_e32 v56, 0x3f62ad3f, v54
	v_fma_f32 v66, 0x3df6dbef, v54, -v60
	v_sub_f32_e32 v76, v39, v45
	v_add_f32_e32 v52, v52, v26
	v_add_f32_e32 v53, v53, v27
	v_mul_f32_e32 v59, 0xbf52af12, v48
	v_mul_f32_e32 v61, 0xbf7e222b, v48
	v_fmamk_f32 v63, v49, 0x3f62ad3f, v57
	v_add_f32_e32 v52, v52, v28
	v_add_f32_e32 v53, v53, v29
	v_fma_f32 v57, 0x3f62ad3f, v49, -v57
	v_add_f32_e32 v67, v46, v56
	v_mul_f32_e32 v71, 0xbf29c268, v48
	v_add_f32_e32 v52, v52, v34
	v_add_f32_e32 v53, v53, v35
	;; [unrolled: 1-line block ×3, first 2 shown]
	v_mul_f32_e32 v79, 0xbf52af12, v76
	v_mul_f32_e32 v58, 0xbf52af12, v55
	v_add_f32_e32 v52, v52, v36
	v_add_f32_e32 v53, v53, v37
	v_fmamk_f32 v65, v49, 0x3f116cb1, v59
	v_fma_f32 v59, 0x3f116cb1, v49, -v59
	v_add_f32_e32 v62, v46, v62
	v_add_f32_e32 v52, v52, v42
	;; [unrolled: 1-line block ×4, first 2 shown]
	v_mul_f32_e32 v69, 0xbf29c268, v55
	v_fmamk_f32 v73, v49, 0xbf3f9e67, v71
	v_add_f32_e32 v52, v52, v44
	v_add_f32_e32 v53, v53, v45
	v_fma_f32 v71, 0xbf3f9e67, v49, -v71
	v_sub_f32_e32 v38, v38, v44
	v_fma_f32 v64, 0x3f116cb1, v54, -v58
	v_add_f32_e32 v56, v52, v12
	v_add_f32_e32 v52, v46, v66
	v_mul_f32_e32 v66, 0xbf6f5d39, v48
	v_mul_f32_e32 v48, 0xbe750f2a, v48
	v_add_f32_e32 v57, v53, v13
	v_mul_f32_e32 v12, 0xbf6f5d39, v55
	v_fmamk_f32 v13, v49, 0x3df6dbef, v61
	v_fma_f32 v53, 0x3df6dbef, v49, -v61
	v_fmamk_f32 v70, v49, 0xbeb58ec6, v66
	v_fma_f32 v66, 0xbeb58ec6, v49, -v66
	v_mul_f32_e32 v55, 0xbe750f2a, v55
	v_fmamk_f32 v77, v49, 0xbf788fa5, v48
	v_fma_f32 v44, 0xbf788fa5, v49, -v48
	v_fma_f32 v48, 0x3f116cb1, v78, -v79
	v_fmac_f32_e32 v58, 0x3f116cb1, v54
	v_add_f32_e32 v63, v47, v63
	v_add_f32_e32 v65, v47, v65
	;; [unrolled: 1-line block ×3, first 2 shown]
	v_fmac_f32_e32 v60, 0x3df6dbef, v54
	v_fma_f32 v61, 0xbeb58ec6, v54, -v12
	v_add_f32_e32 v13, v47, v13
	v_add_f32_e32 v53, v47, v53
	v_fmac_f32_e32 v12, 0xbeb58ec6, v54
	v_fma_f32 v72, 0xbf3f9e67, v54, -v69
	v_add_f32_e32 v70, v47, v70
	v_add_f32_e32 v66, v47, v66
	v_fmac_f32_e32 v69, 0xbf3f9e67, v54
	v_add_f32_e32 v73, v47, v73
	v_fma_f32 v75, 0xbf788fa5, v54, -v55
	v_add_f32_e32 v71, v47, v71
	v_add_f32_e32 v77, v47, v77
	v_fmac_f32_e32 v55, 0xbf788fa5, v54
	v_add_f32_e32 v39, v45, v39
	v_mul_f32_e32 v45, 0xbf52af12, v38
	v_add_f32_e32 v44, v47, v44
	v_add_f32_e32 v47, v48, v62
	v_mul_f32_e32 v48, 0xbf6f5d39, v76
	v_add_f32_e32 v64, v46, v64
	v_add_f32_e32 v58, v46, v58
	;; [unrolled: 1-line block ×9, first 2 shown]
	v_fmamk_f32 v49, v39, 0x3f116cb1, v45
	v_mul_f32_e32 v54, 0xbf6f5d39, v38
	v_fma_f32 v55, 0xbeb58ec6, v78, -v48
	v_fmac_f32_e32 v79, 0x3f116cb1, v78
	v_fmac_f32_e32 v48, 0xbeb58ec6, v78
	v_add_f32_e32 v49, v49, v63
	v_fmamk_f32 v63, v39, 0xbeb58ec6, v54
	v_add_f32_e32 v55, v55, v64
	v_mul_f32_e32 v64, 0xbe750f2a, v76
	v_add_f32_e32 v62, v79, v67
	v_fma_f32 v54, 0xbeb58ec6, v39, -v54
	v_add_f32_e32 v63, v63, v65
	v_mul_f32_e32 v65, 0xbe750f2a, v38
	v_fma_f32 v67, 0xbf788fa5, v78, -v64
	v_add_f32_e32 v48, v48, v58
	v_mul_f32_e32 v58, 0x3f29c268, v76
	v_add_f32_e32 v54, v54, v59
	v_fmamk_f32 v59, v39, 0xbf788fa5, v65
	v_add_f32_e32 v52, v67, v52
	v_fmac_f32_e32 v64, 0xbf788fa5, v78
	v_fma_f32 v67, 0xbf3f9e67, v78, -v58
	v_fma_f32 v45, 0x3f116cb1, v39, -v45
	;; [unrolled: 1-line block ×3, first 2 shown]
	v_add_f32_e32 v13, v59, v13
	v_mul_f32_e32 v59, 0x3f29c268, v38
	v_add_f32_e32 v60, v64, v60
	v_add_f32_e32 v61, v67, v61
	v_mul_f32_e32 v64, 0x3f7e222b, v76
	v_fmac_f32_e32 v58, 0xbf3f9e67, v78
	v_mul_f32_e32 v67, 0x3f7e222b, v38
	v_add_f32_e32 v45, v45, v68
	v_add_f32_e32 v53, v65, v53
	v_fmamk_f32 v65, v39, 0xbf3f9e67, v59
	v_fma_f32 v59, 0xbf3f9e67, v39, -v59
	v_fma_f32 v68, 0x3df6dbef, v78, -v64
	v_add_f32_e32 v12, v58, v12
	v_fmamk_f32 v58, v39, 0x3df6dbef, v67
	v_fmac_f32_e32 v64, 0x3df6dbef, v78
	v_fma_f32 v67, 0x3df6dbef, v39, -v67
	v_add_f32_e32 v59, v59, v66
	v_add_f32_e32 v66, v68, v72
	v_mul_f32_e32 v68, 0x3eedf032, v76
	v_mul_f32_e32 v38, 0x3eedf032, v38
	v_add_f32_e32 v64, v64, v69
	v_sub_f32_e32 v69, v41, v43
	v_add_f32_e32 v67, v67, v71
	v_add_f32_e32 v71, v42, v40
	v_sub_f32_e32 v40, v40, v42
	v_add_f32_e32 v65, v65, v70
	v_add_f32_e32 v58, v58, v73
	v_fma_f32 v70, 0x3f62ad3f, v78, -v68
	v_fmamk_f32 v72, v39, 0x3f62ad3f, v38
	v_mul_f32_e32 v73, 0xbf7e222b, v69
	v_fmac_f32_e32 v68, 0x3f62ad3f, v78
	v_fma_f32 v38, 0x3f62ad3f, v39, -v38
	v_add_f32_e32 v41, v43, v41
	v_mul_f32_e32 v42, 0xbf7e222b, v40
	v_fma_f32 v39, 0x3df6dbef, v71, -v73
	v_add_f32_e32 v43, v68, v46
	v_add_f32_e32 v38, v38, v44
	v_mul_f32_e32 v44, 0xbe750f2a, v69
	v_fmamk_f32 v46, v41, 0x3df6dbef, v42
	v_fmac_f32_e32 v73, 0x3df6dbef, v71
	v_add_f32_e32 v39, v39, v47
	v_fma_f32 v42, 0x3df6dbef, v41, -v42
	v_mul_f32_e32 v47, 0xbe750f2a, v40
	v_fma_f32 v68, 0xbf788fa5, v71, -v44
	v_add_f32_e32 v46, v46, v49
	v_add_f32_e32 v49, v73, v62
	v_mul_f32_e32 v62, 0x3f6f5d39, v69
	v_fmac_f32_e32 v44, 0xbf788fa5, v71
	v_add_f32_e32 v42, v42, v45
	v_fmamk_f32 v45, v41, 0xbf788fa5, v47
	v_add_f32_e32 v55, v68, v55
	v_fma_f32 v68, 0xbeb58ec6, v71, -v62
	v_add_f32_e32 v44, v44, v48
	v_mul_f32_e32 v48, 0x3eedf032, v69
	v_fma_f32 v47, 0xbf788fa5, v41, -v47
	v_add_f32_e32 v45, v45, v63
	v_mul_f32_e32 v63, 0x3f6f5d39, v40
	v_add_f32_e32 v52, v68, v52
	v_fmac_f32_e32 v62, 0xbeb58ec6, v71
	v_fma_f32 v68, 0x3f62ad3f, v71, -v48
	v_add_f32_e32 v47, v47, v54
	v_fmamk_f32 v54, v41, 0xbeb58ec6, v63
	v_fmac_f32_e32 v48, 0x3f62ad3f, v71
	v_add_f32_e32 v60, v62, v60
	v_add_f32_e32 v61, v68, v61
	v_mul_f32_e32 v62, 0xbf52af12, v69
	v_mul_f32_e32 v68, 0xbf52af12, v40
	v_fma_f32 v63, 0xbeb58ec6, v41, -v63
	v_add_f32_e32 v13, v54, v13
	v_mul_f32_e32 v54, 0x3eedf032, v40
	v_fma_f32 v73, 0x3f116cb1, v71, -v62
	v_add_f32_e32 v12, v48, v12
	v_fmamk_f32 v48, v41, 0x3f116cb1, v68
	v_fmac_f32_e32 v62, 0x3f116cb1, v71
	v_add_f32_e32 v53, v63, v53
	v_fmamk_f32 v63, v41, 0x3f62ad3f, v54
	v_fma_f32 v54, 0x3f62ad3f, v41, -v54
	v_add_f32_e32 v48, v48, v58
	v_fma_f32 v58, 0x3f116cb1, v41, -v68
	v_add_f32_e32 v62, v62, v64
	v_sub_f32_e32 v64, v31, v37
	v_add_f32_e32 v63, v63, v65
	v_mul_f32_e32 v65, 0xbf29c268, v69
	v_mul_f32_e32 v40, 0xbf29c268, v40
	v_add_f32_e32 v58, v58, v67
	v_add_f32_e32 v67, v36, v30
	v_mul_f32_e32 v69, 0xbf6f5d39, v64
	v_sub_f32_e32 v30, v30, v36
	v_add_f32_e32 v54, v54, v59
	v_add_f32_e32 v59, v73, v66
	v_fma_f32 v66, 0xbf3f9e67, v71, -v65
	v_fmamk_f32 v68, v41, 0xbf3f9e67, v40
	v_fmac_f32_e32 v65, 0xbf3f9e67, v71
	v_fma_f32 v36, 0xbf3f9e67, v41, -v40
	v_fma_f32 v40, 0xbeb58ec6, v67, -v69
	v_add_f32_e32 v31, v37, v31
	v_mul_f32_e32 v37, 0xbf6f5d39, v30
	v_add_f32_e32 v41, v65, v43
	v_add_f32_e32 v36, v36, v38
	;; [unrolled: 1-line block ×3, first 2 shown]
	v_mul_f32_e32 v39, 0x3f29c268, v64
	v_fmamk_f32 v40, v31, 0xbeb58ec6, v37
	v_fma_f32 v37, 0xbeb58ec6, v31, -v37
	v_mul_f32_e32 v43, 0x3f29c268, v30
	v_fmac_f32_e32 v69, 0xbeb58ec6, v67
	v_fma_f32 v65, 0xbf3f9e67, v67, -v39
	v_add_f32_e32 v40, v40, v46
	v_add_f32_e32 v37, v37, v42
	v_fmamk_f32 v42, v31, 0xbf3f9e67, v43
	v_add_f32_e32 v46, v69, v49
	v_add_f32_e32 v49, v65, v55
	v_mul_f32_e32 v55, 0x3eedf032, v64
	v_fmac_f32_e32 v39, 0xbf3f9e67, v67
	v_fma_f32 v43, 0xbf3f9e67, v31, -v43
	v_add_f32_e32 v42, v42, v45
	v_mul_f32_e32 v45, 0x3eedf032, v30
	v_fma_f32 v65, 0x3f62ad3f, v67, -v55
	v_add_f32_e32 v39, v39, v44
	v_add_f32_e32 v43, v43, v47
	v_mul_f32_e32 v44, 0xbf7e222b, v64
	v_fmamk_f32 v47, v31, 0x3f62ad3f, v45
	v_fmac_f32_e32 v55, 0x3f62ad3f, v67
	v_add_f32_e32 v52, v65, v52
	v_fma_f32 v45, 0x3f62ad3f, v31, -v45
	v_fma_f32 v65, 0x3df6dbef, v67, -v44
	v_add_f32_e32 v13, v47, v13
	v_mul_f32_e32 v47, 0xbf7e222b, v30
	v_add_f32_e32 v55, v55, v60
	v_mul_f32_e32 v60, 0x3e750f2a, v64
	v_add_f32_e32 v45, v45, v53
	v_add_f32_e32 v53, v65, v61
	v_fmamk_f32 v61, v31, 0x3df6dbef, v47
	v_fmac_f32_e32 v44, 0x3df6dbef, v67
	v_mul_f32_e32 v65, 0x3e750f2a, v30
	v_fma_f32 v47, 0x3df6dbef, v31, -v47
	v_fma_f32 v69, 0xbf788fa5, v67, -v60
	v_add_f32_e32 v70, v70, v75
	v_add_f32_e32 v12, v44, v12
	v_fmamk_f32 v44, v31, 0xbf788fa5, v65
	v_add_f32_e32 v47, v47, v54
	v_add_f32_e32 v54, v69, v59
	v_mul_f32_e32 v59, 0x3f52af12, v64
	v_fmac_f32_e32 v60, 0xbf788fa5, v67
	v_add_f32_e32 v66, v66, v70
	v_add_f32_e32 v61, v61, v63
	;; [unrolled: 1-line block ×3, first 2 shown]
	v_mul_f32_e32 v30, 0x3f52af12, v30
	v_fma_f32 v48, 0xbf788fa5, v31, -v65
	v_fma_f32 v63, 0x3f116cb1, v67, -v59
	v_add_f32_e32 v60, v60, v62
	v_sub_f32_e32 v62, v33, v35
	v_fmamk_f32 v64, v31, 0x3f116cb1, v30
	v_add_f32_e32 v48, v48, v58
	v_add_f32_e32 v58, v63, v66
	v_add_f32_e32 v63, v34, v32
	v_mul_f32_e32 v65, 0xbf29c268, v62
	v_sub_f32_e32 v32, v32, v34
	v_fma_f32 v30, 0x3f116cb1, v31, -v30
	v_fmac_f32_e32 v59, 0x3f116cb1, v67
	v_add_f32_e32 v33, v35, v33
	v_fma_f32 v31, 0xbf3f9e67, v63, -v65
	v_mul_f32_e32 v34, 0xbf29c268, v32
	v_add_f32_e32 v30, v30, v36
	v_mul_f32_e32 v36, 0x3f7e222b, v62
	v_add_f32_e32 v35, v59, v41
	v_add_f32_e32 v31, v31, v38
	v_fmamk_f32 v38, v33, 0xbf3f9e67, v34
	v_fmac_f32_e32 v65, 0xbf3f9e67, v63
	v_fma_f32 v34, 0xbf3f9e67, v33, -v34
	v_mul_f32_e32 v41, 0x3f7e222b, v32
	v_fma_f32 v59, 0x3df6dbef, v63, -v36
	v_add_f32_e32 v38, v38, v40
	v_add_f32_e32 v40, v65, v46
	;; [unrolled: 1-line block ×3, first 2 shown]
	v_fmamk_f32 v37, v33, 0x3df6dbef, v41
	v_add_f32_e32 v46, v59, v49
	v_mul_f32_e32 v49, 0xbf52af12, v62
	v_fmac_f32_e32 v36, 0x3df6dbef, v63
	v_fma_f32 v41, 0x3df6dbef, v33, -v41
	v_add_f32_e32 v37, v37, v42
	v_mul_f32_e32 v42, 0xbf52af12, v32
	v_fma_f32 v59, 0x3f116cb1, v63, -v49
	v_add_f32_e32 v36, v36, v39
	v_add_f32_e32 v39, v41, v43
	v_mul_f32_e32 v41, 0x3e750f2a, v62
	v_fmamk_f32 v43, v33, 0x3f116cb1, v42
	v_add_f32_e32 v52, v59, v52
	v_fma_f32 v42, 0x3f116cb1, v33, -v42
	v_add_f32_e32 v72, v72, v77
	v_fma_f32 v59, 0xbf788fa5, v63, -v41
	v_fmac_f32_e32 v49, 0x3f116cb1, v63
	v_add_f32_e32 v43, v43, v13
	v_mul_f32_e32 v13, 0x3e750f2a, v32
	v_add_f32_e32 v42, v42, v45
	v_add_f32_e32 v45, v59, v53
	v_mul_f32_e32 v53, 0x3eedf032, v62
	v_fmac_f32_e32 v41, 0xbf788fa5, v63
	v_mul_f32_e32 v59, 0x3eedf032, v32
	v_add_f32_e32 v68, v68, v72
	v_add_f32_e32 v49, v49, v55
	v_fmamk_f32 v55, v33, 0xbf788fa5, v13
	v_fma_f32 v65, 0x3f62ad3f, v63, -v53
	v_add_f32_e32 v41, v41, v12
	v_fmamk_f32 v12, v33, 0x3f62ad3f, v59
	v_mul_f32_e32 v32, 0xbf6f5d39, v32
	v_add_f32_e32 v64, v64, v68
	v_fma_f32 v13, 0xbf788fa5, v33, -v13
	v_add_f32_e32 v55, v55, v61
	v_add_f32_e32 v54, v65, v54
	;; [unrolled: 1-line block ×3, first 2 shown]
	v_fma_f32 v12, 0x3f62ad3f, v33, -v59
	v_fmamk_f32 v61, v33, 0xbeb58ec6, v32
	v_sub_f32_e32 v65, v27, v29
	v_add_f32_e32 v47, v13, v47
	v_mul_f32_e32 v13, 0xbf6f5d39, v62
	v_add_f32_e32 v48, v12, v48
	v_add_f32_e32 v67, v61, v64
	;; [unrolled: 1-line block ×3, first 2 shown]
	v_mul_f32_e32 v12, 0xbe750f2a, v65
	v_sub_f32_e32 v61, v26, v28
	v_fma_f32 v59, 0xbeb58ec6, v63, -v13
	v_fmac_f32_e32 v13, 0xbeb58ec6, v63
	v_fma_f32 v26, 0xbeb58ec6, v33, -v32
	v_add_f32_e32 v68, v29, v27
	v_fma_f32 v27, 0xbf788fa5, v64, -v12
	v_mul_f32_e32 v29, 0xbe750f2a, v61
	v_add_f32_e32 v69, v13, v35
	v_add_f32_e32 v72, v26, v30
	v_mul_f32_e32 v26, 0x3eedf032, v65
	v_add_f32_e32 v28, v27, v31
	v_fmamk_f32 v13, v68, 0xbf788fa5, v29
	v_fma_f32 v27, 0xbf788fa5, v68, -v29
	v_mul_f32_e32 v31, 0x3eedf032, v61
	v_fma_f32 v30, 0x3f62ad3f, v64, -v26
	v_fmac_f32_e32 v26, 0x3f62ad3f, v64
	v_add_f32_e32 v29, v13, v38
	v_add_f32_e32 v13, v27, v34
	v_fmamk_f32 v27, v68, 0x3f62ad3f, v31
	v_fma_f32 v33, 0x3f62ad3f, v68, -v31
	v_mul_f32_e32 v35, 0xbf29c268, v61
	v_fmac_f32_e32 v12, 0xbf788fa5, v64
	v_add_f32_e32 v26, v26, v36
	v_add_f32_e32 v31, v27, v37
	;; [unrolled: 1-line block ×3, first 2 shown]
	v_fmamk_f32 v33, v68, 0xbf3f9e67, v35
	v_fma_f32 v36, 0xbf3f9e67, v68, -v35
	v_mul_f32_e32 v37, 0x3f52af12, v65
	v_add_f32_e32 v12, v12, v40
	v_add_f32_e32 v39, v24, v22
	;; [unrolled: 1-line block ×4, first 2 shown]
	v_fma_f32 v36, 0x3f116cb1, v64, -v37
	v_add_f32_e32 v40, v25, v23
	v_mul_f32_e32 v38, 0x3f52af12, v61
	v_fmac_f32_e32 v37, 0x3f116cb1, v64
	v_add_f32_e32 v66, v59, v58
	v_add_f32_e32 v62, v36, v45
	;; [unrolled: 1-line block ×4, first 2 shown]
	v_fmamk_f32 v42, v68, 0x3f116cb1, v38
	v_add_f32_e32 v58, v37, v41
	v_fma_f32 v37, 0x3f116cb1, v68, -v38
	v_add_f32_e32 v36, v16, v36
	v_add_f32_e32 v38, v17, v39
	v_fmac_f32_e32 v53, 0x3f62ad3f, v63
	v_mul_f32_e32 v39, 0xbf6f5d39, v65
	v_add_f32_e32 v59, v37, v47
	v_add_f32_e32 v36, v8, v36
	;; [unrolled: 1-line block ×4, first 2 shown]
	v_mul_f32_e32 v40, 0xbf6f5d39, v61
	v_fma_f32 v38, 0xbeb58ec6, v64, -v39
	v_add_f32_e32 v36, v10, v36
	v_add_f32_e32 v37, v11, v37
	v_fmac_f32_e32 v39, 0xbeb58ec6, v64
	v_mul_f32_e32 v32, 0xbf29c268, v65
	v_add_f32_e32 v70, v38, v54
	v_add_f32_e32 v36, v0, v36
	;; [unrolled: 1-line block ×4, first 2 shown]
	v_fma_f32 v38, 0xbeb58ec6, v68, -v40
	v_mul_f32_e32 v39, 0x3f7e222b, v65
	v_add_f32_e32 v36, v2, v36
	v_add_f32_e32 v37, v3, v37
	v_fmamk_f32 v41, v68, 0xbeb58ec6, v40
	v_mul_f32_e32 v40, 0x3f7e222b, v61
	v_add_f32_e32 v61, v38, v48
	v_fma_f32 v38, 0x3df6dbef, v64, -v39
	v_add_f32_e32 v36, v4, v36
	v_add_f32_e32 v37, v5, v37
	v_fma_f32 v34, 0xbf3f9e67, v64, -v32
	v_fmac_f32_e32 v32, 0xbf3f9e67, v64
	v_add_f32_e32 v71, v41, v44
	v_fmamk_f32 v41, v68, 0x3df6dbef, v40
	v_fmac_f32_e32 v39, 0x3df6dbef, v64
	v_add_f32_e32 v64, v38, v66
	v_add_f32_e32 v36, v6, v36
	;; [unrolled: 1-line block ×3, first 2 shown]
	v_sub_f32_e32 v38, v25, v51
	v_add_f32_e32 v65, v41, v67
	v_add_f32_e32 v66, v39, v69
	v_fma_f32 v39, 0x3df6dbef, v68, -v40
	v_add_f32_e32 v36, v18, v36
	v_add_f32_e32 v37, v19, v37
	;; [unrolled: 1-line block ×3, first 2 shown]
	v_mul_f32_e32 v41, 0xbeedf032, v38
	v_sub_f32_e32 v24, v24, v50
	v_sub_f32_e32 v76, v15, v21
	v_add_f32_e32 v34, v34, v52
	v_add_f32_e32 v63, v42, v55
	v_add_f32_e32 v67, v39, v72
	v_add_f32_e32 v36, v20, v36
	v_add_f32_e32 v37, v21, v37
	v_fma_f32 v39, 0x3f62ad3f, v40, -v41
	v_add_f32_e32 v25, v51, v25
	v_mul_f32_e32 v42, 0xbeedf032, v24
	v_mul_f32_e32 v43, 0xbf52af12, v24
	;; [unrolled: 1-line block ×6, first 2 shown]
	v_add_f32_e32 v78, v20, v14
	v_mul_f32_e32 v79, 0xbf52af12, v76
	v_sub_f32_e32 v14, v14, v20
	v_add_f32_e32 v30, v30, v46
	v_add_f32_e32 v32, v32, v49
	;; [unrolled: 1-line block ×5, first 2 shown]
	v_mul_f32_e32 v37, 0xbf52af12, v38
	v_fmamk_f32 v39, v25, 0x3f62ad3f, v42
	v_fmac_f32_e32 v41, 0x3f62ad3f, v40
	v_fma_f32 v42, 0x3f62ad3f, v25, -v42
	v_fmamk_f32 v45, v25, 0x3f116cb1, v43
	v_mul_f32_e32 v46, 0xbf7e222b, v38
	v_fma_f32 v43, 0x3f116cb1, v25, -v43
	v_mul_f32_e32 v49, 0xbf6f5d39, v38
	v_fmamk_f32 v50, v25, 0x3df6dbef, v47
	v_fma_f32 v47, 0x3df6dbef, v25, -v47
	v_mul_f32_e32 v53, 0xbf29c268, v38
	v_fmamk_f32 v54, v25, 0xbeb58ec6, v52
	v_fma_f32 v52, 0xbeb58ec6, v25, -v52
	v_fmamk_f32 v73, v25, 0xbf3f9e67, v55
	v_mul_f32_e32 v38, 0xbe750f2a, v38
	v_fma_f32 v55, 0xbf3f9e67, v25, -v55
	v_fmamk_f32 v77, v25, 0xbf788fa5, v24
	v_fma_f32 v20, 0xbf788fa5, v25, -v24
	v_fma_f32 v24, 0x3f116cb1, v78, -v79
	v_add_f32_e32 v15, v21, v15
	v_mul_f32_e32 v21, 0xbf52af12, v14
	v_fma_f32 v44, 0x3f116cb1, v40, -v37
	v_add_f32_e32 v39, v39, v23
	v_add_f32_e32 v41, v41, v22
	;; [unrolled: 1-line block ×3, first 2 shown]
	v_fmac_f32_e32 v37, 0x3f116cb1, v40
	v_add_f32_e32 v45, v45, v23
	v_fma_f32 v48, 0x3df6dbef, v40, -v46
	v_add_f32_e32 v43, v43, v23
	v_fmac_f32_e32 v46, 0x3df6dbef, v40
	v_fma_f32 v51, 0xbeb58ec6, v40, -v49
	v_add_f32_e32 v50, v50, v23
	v_add_f32_e32 v47, v47, v23
	v_fmac_f32_e32 v49, 0xbeb58ec6, v40
	v_fma_f32 v72, 0xbf3f9e67, v40, -v53
	v_add_f32_e32 v54, v54, v23
	v_add_f32_e32 v52, v52, v23
	v_fmac_f32_e32 v53, 0xbf3f9e67, v40
	v_add_f32_e32 v73, v73, v23
	v_fma_f32 v75, 0xbf788fa5, v40, -v38
	v_add_f32_e32 v55, v55, v23
	v_add_f32_e32 v77, v77, v23
	v_fmac_f32_e32 v38, 0xbf788fa5, v40
	v_add_f32_e32 v20, v20, v23
	v_add_f32_e32 v23, v24, v36
	v_mul_f32_e32 v24, 0xbf6f5d39, v76
	v_fmamk_f32 v25, v15, 0x3f116cb1, v21
	v_fmac_f32_e32 v79, 0x3f116cb1, v78
	v_add_f32_e32 v44, v44, v22
	v_add_f32_e32 v37, v37, v22
	;; [unrolled: 1-line block ×10, first 2 shown]
	v_fma_f32 v21, 0x3f116cb1, v15, -v21
	v_mul_f32_e32 v36, 0xbf6f5d39, v14
	v_fma_f32 v38, 0xbeb58ec6, v78, -v24
	v_add_f32_e32 v25, v25, v39
	v_add_f32_e32 v39, v79, v41
	v_mul_f32_e32 v41, 0xbe750f2a, v76
	v_fmac_f32_e32 v24, 0xbeb58ec6, v78
	v_add_f32_e32 v21, v21, v42
	v_fmamk_f32 v40, v15, 0xbeb58ec6, v36
	v_add_f32_e32 v38, v38, v44
	v_fma_f32 v36, 0xbeb58ec6, v15, -v36
	v_mul_f32_e32 v42, 0xbe750f2a, v14
	v_fma_f32 v44, 0xbf788fa5, v78, -v41
	v_add_f32_e32 v24, v24, v37
	v_mul_f32_e32 v37, 0x3f29c268, v76
	v_fmac_f32_e32 v41, 0xbf788fa5, v78
	v_add_f32_e32 v40, v40, v45
	v_add_f32_e32 v36, v36, v43
	v_fmamk_f32 v43, v15, 0xbf788fa5, v42
	v_fma_f32 v45, 0xbf3f9e67, v78, -v37
	v_add_f32_e32 v41, v41, v46
	v_mul_f32_e32 v46, 0x3f7e222b, v76
	v_add_f32_e32 v44, v44, v48
	v_fma_f32 v42, 0xbf788fa5, v15, -v42
	v_add_f32_e32 v43, v43, v50
	v_mul_f32_e32 v48, 0x3f29c268, v14
	v_add_f32_e32 v45, v45, v51
	v_fmac_f32_e32 v37, 0xbf3f9e67, v78
	v_mul_f32_e32 v50, 0x3f7e222b, v14
	v_fma_f32 v51, 0x3df6dbef, v78, -v46
	v_fmac_f32_e32 v46, 0x3df6dbef, v78
	v_add_f32_e32 v42, v42, v47
	v_fmamk_f32 v47, v15, 0xbf3f9e67, v48
	v_fma_f32 v48, 0xbf3f9e67, v15, -v48
	v_add_f32_e32 v37, v37, v49
	v_fmamk_f32 v49, v15, 0x3df6dbef, v50
	v_fma_f32 v50, 0x3df6dbef, v15, -v50
	v_add_f32_e32 v46, v46, v53
	v_sub_f32_e32 v53, v17, v19
	v_add_f32_e32 v48, v48, v52
	v_mul_f32_e32 v52, 0x3eedf032, v76
	v_add_f32_e32 v49, v49, v73
	v_mul_f32_e32 v14, 0x3eedf032, v14
	v_add_f32_e32 v50, v50, v55
	v_add_f32_e32 v55, v18, v16
	v_mul_f32_e32 v73, 0xbf7e222b, v53
	v_sub_f32_e32 v16, v16, v18
	v_add_f32_e32 v47, v47, v54
	v_add_f32_e32 v51, v51, v72
	v_fma_f32 v54, 0x3f62ad3f, v78, -v52
	v_fmamk_f32 v72, v15, 0x3f62ad3f, v14
	v_fmac_f32_e32 v52, 0x3f62ad3f, v78
	v_fma_f32 v14, 0x3f62ad3f, v15, -v14
	v_fma_f32 v15, 0x3df6dbef, v55, -v73
	v_add_f32_e32 v17, v19, v17
	v_mul_f32_e32 v18, 0xbf7e222b, v16
	v_add_f32_e32 v19, v52, v22
	v_add_f32_e32 v14, v14, v20
	;; [unrolled: 1-line block ×3, first 2 shown]
	v_mul_f32_e32 v23, 0xbe750f2a, v16
	v_fmamk_f32 v22, v17, 0x3df6dbef, v18
	v_fma_f32 v18, 0x3df6dbef, v17, -v18
	v_mul_f32_e32 v20, 0xbe750f2a, v53
	v_fmac_f32_e32 v73, 0x3df6dbef, v55
	v_add_f32_e32 v54, v54, v75
	v_add_f32_e32 v22, v22, v25
	;; [unrolled: 1-line block ×3, first 2 shown]
	v_fmamk_f32 v21, v17, 0xbf788fa5, v23
	v_fma_f32 v52, 0xbf788fa5, v55, -v20
	v_add_f32_e32 v25, v73, v39
	v_mul_f32_e32 v39, 0x3f6f5d39, v53
	v_fmac_f32_e32 v20, 0xbf788fa5, v55
	v_fma_f32 v23, 0xbf788fa5, v17, -v23
	v_add_f32_e32 v21, v21, v40
	v_mul_f32_e32 v40, 0x3f6f5d39, v16
	v_add_f32_e32 v38, v52, v38
	v_fma_f32 v52, 0xbeb58ec6, v55, -v39
	v_add_f32_e32 v20, v20, v24
	v_add_f32_e32 v23, v23, v36
	v_mul_f32_e32 v24, 0x3eedf032, v53
	v_fmamk_f32 v36, v17, 0xbeb58ec6, v40
	v_add_f32_e32 v44, v52, v44
	v_fmac_f32_e32 v39, 0xbeb58ec6, v55
	v_fma_f32 v40, 0xbeb58ec6, v17, -v40
	v_fma_f32 v52, 0x3f62ad3f, v55, -v24
	v_add_f32_e32 v36, v36, v43
	v_mul_f32_e32 v43, 0x3eedf032, v16
	v_add_f32_e32 v39, v39, v41
	v_add_f32_e32 v40, v40, v42
	;; [unrolled: 1-line block ×3, first 2 shown]
	v_mul_f32_e32 v42, 0xbf52af12, v53
	v_fmamk_f32 v45, v17, 0x3f62ad3f, v43
	v_fmac_f32_e32 v24, 0x3f62ad3f, v55
	v_mul_f32_e32 v52, 0xbf52af12, v16
	v_fma_f32 v43, 0x3f62ad3f, v17, -v43
	v_fma_f32 v73, 0x3f116cb1, v55, -v42
	v_fmac_f32_e32 v42, 0x3f116cb1, v55
	v_add_f32_e32 v24, v24, v37
	v_fmamk_f32 v37, v17, 0x3f116cb1, v52
	v_add_f32_e32 v43, v43, v48
	v_mul_f32_e32 v48, 0xbf29c268, v53
	v_add_f32_e32 v45, v45, v47
	v_add_f32_e32 v47, v73, v51
	;; [unrolled: 1-line block ×3, first 2 shown]
	v_fma_f32 v49, 0x3f116cb1, v17, -v52
	v_fma_f32 v51, 0xbf3f9e67, v55, -v48
	v_add_f32_e32 v42, v42, v46
	v_sub_f32_e32 v46, v9, v7
	v_mul_f32_e32 v16, 0xbf29c268, v16
	v_add_f32_e32 v49, v49, v50
	v_add_f32_e32 v50, v51, v54
	;; [unrolled: 1-line block ×3, first 2 shown]
	v_mul_f32_e32 v53, 0xbf6f5d39, v46
	v_fmamk_f32 v52, v17, 0xbf3f9e67, v16
	v_sub_f32_e32 v6, v8, v6
	v_fma_f32 v8, 0xbf3f9e67, v17, -v16
	v_fmac_f32_e32 v48, 0xbf3f9e67, v55
	v_fma_f32 v16, 0xbeb58ec6, v51, -v53
	v_add_f32_e32 v7, v7, v9
	v_mul_f32_e32 v9, 0xbf6f5d39, v6
	v_add_f32_e32 v8, v8, v14
	v_add_f32_e32 v17, v48, v19
	;; [unrolled: 1-line block ×3, first 2 shown]
	v_mul_f32_e32 v15, 0x3f29c268, v46
	v_fmamk_f32 v16, v7, 0xbeb58ec6, v9
	v_fmac_f32_e32 v53, 0xbeb58ec6, v51
	v_fma_f32 v9, 0xbeb58ec6, v7, -v9
	v_mul_f32_e32 v19, 0x3f29c268, v6
	v_fma_f32 v48, 0xbf3f9e67, v51, -v15
	v_add_f32_e32 v16, v16, v22
	v_add_f32_e32 v22, v53, v25
	;; [unrolled: 1-line block ×3, first 2 shown]
	v_fmamk_f32 v18, v7, 0xbf3f9e67, v19
	v_add_f32_e32 v25, v48, v38
	v_mul_f32_e32 v38, 0x3eedf032, v46
	v_fmac_f32_e32 v15, 0xbf3f9e67, v51
	v_fma_f32 v19, 0xbf3f9e67, v7, -v19
	v_add_f32_e32 v18, v18, v21
	v_mul_f32_e32 v21, 0x3eedf032, v6
	v_fma_f32 v48, 0x3f62ad3f, v51, -v38
	v_add_f32_e32 v15, v15, v20
	v_mul_f32_e32 v20, 0xbf7e222b, v46
	v_add_f32_e32 v19, v19, v23
	v_fmamk_f32 v23, v7, 0x3f62ad3f, v21
	v_add_f32_e32 v44, v48, v44
	v_fmac_f32_e32 v38, 0x3f62ad3f, v51
	v_fma_f32 v21, 0x3f62ad3f, v7, -v21
	v_fma_f32 v48, 0x3df6dbef, v51, -v20
	v_fmac_f32_e32 v20, 0x3df6dbef, v51
	v_add_f32_e32 v23, v23, v36
	v_add_f32_e32 v38, v38, v39
	;; [unrolled: 1-line block ×4, first 2 shown]
	v_mul_f32_e32 v40, 0x3e750f2a, v46
	v_mul_f32_e32 v48, 0x3e750f2a, v6
	;; [unrolled: 1-line block ×3, first 2 shown]
	v_add_f32_e32 v20, v20, v24
	v_mul_f32_e32 v6, 0x3f52af12, v6
	v_fma_f32 v53, 0xbf788fa5, v51, -v40
	v_fmamk_f32 v24, v7, 0xbf788fa5, v48
	v_fmac_f32_e32 v40, 0xbf788fa5, v51
	v_fmamk_f32 v41, v7, 0x3df6dbef, v36
	v_fma_f32 v36, 0x3df6dbef, v7, -v36
	v_add_f32_e32 v72, v72, v77
	v_add_f32_e32 v24, v24, v37
	v_fma_f32 v37, 0xbf788fa5, v7, -v48
	v_add_f32_e32 v40, v40, v42
	v_sub_f32_e32 v42, v11, v5
	v_add_f32_e32 v41, v41, v45
	v_add_f32_e32 v36, v36, v43
	;; [unrolled: 1-line block ×3, first 2 shown]
	v_mul_f32_e32 v45, 0x3f52af12, v46
	v_fmamk_f32 v47, v7, 0x3f116cb1, v6
	v_add_f32_e32 v37, v37, v49
	v_add_f32_e32 v48, v4, v10
	v_mul_f32_e32 v49, 0xbf29c268, v42
	v_sub_f32_e32 v4, v10, v4
	v_fma_f32 v6, 0x3f116cb1, v7, -v6
	v_fma_f32 v46, 0x3f116cb1, v51, -v45
	v_fmac_f32_e32 v45, 0x3f116cb1, v51
	v_fma_f32 v7, 0xbf3f9e67, v48, -v49
	v_add_f32_e32 v5, v5, v11
	v_mul_f32_e32 v10, 0xbf29c268, v4
	v_add_f32_e32 v6, v6, v8
	v_mul_f32_e32 v8, 0x3f7e222b, v42
	v_add_f32_e32 v11, v45, v17
	v_add_f32_e32 v7, v7, v14
	v_fmamk_f32 v14, v5, 0xbf3f9e67, v10
	v_fmac_f32_e32 v49, 0xbf3f9e67, v48
	v_fma_f32 v10, 0xbf3f9e67, v5, -v10
	v_mul_f32_e32 v17, 0x3f7e222b, v4
	v_fma_f32 v45, 0x3df6dbef, v48, -v8
	v_add_f32_e32 v14, v14, v16
	v_add_f32_e32 v16, v49, v22
	;; [unrolled: 1-line block ×3, first 2 shown]
	v_fmamk_f32 v10, v5, 0x3df6dbef, v17
	v_add_f32_e32 v22, v45, v25
	v_mul_f32_e32 v25, 0xbf52af12, v42
	v_fmac_f32_e32 v8, 0x3df6dbef, v48
	v_fma_f32 v17, 0x3df6dbef, v5, -v17
	v_add_f32_e32 v10, v10, v18
	v_mul_f32_e32 v18, 0xbf52af12, v4
	v_fma_f32 v45, 0x3f116cb1, v48, -v25
	v_add_f32_e32 v8, v8, v15
	v_add_f32_e32 v15, v17, v19
	v_mul_f32_e32 v17, 0x3e750f2a, v42
	v_fmamk_f32 v19, v5, 0x3f116cb1, v18
	v_add_f32_e32 v44, v45, v44
	v_fma_f32 v18, 0x3f116cb1, v5, -v18
	v_fmac_f32_e32 v25, 0x3f116cb1, v48
	v_fma_f32 v45, 0xbf788fa5, v48, -v17
	v_fmac_f32_e32 v17, 0xbf788fa5, v48
	v_sub_f32_e32 v53, v1, v3
	v_add_f32_e32 v18, v18, v21
	v_add_f32_e32 v25, v25, v38
	;; [unrolled: 1-line block ×3, first 2 shown]
	v_mul_f32_e32 v45, 0x3eedf032, v4
	v_add_f32_e32 v17, v17, v20
	v_mul_f32_e32 v38, 0x3eedf032, v42
	v_add_f32_e32 v52, v52, v72
	v_add_f32_e32 v19, v19, v23
	v_fmamk_f32 v20, v5, 0x3f62ad3f, v45
	v_mul_f32_e32 v23, 0x3e750f2a, v4
	v_fma_f32 v49, 0x3f62ad3f, v48, -v38
	v_fmac_f32_e32 v38, 0x3f62ad3f, v48
	v_mul_f32_e32 v4, 0xbf6f5d39, v4
	v_add_f32_e32 v20, v20, v24
	v_fma_f32 v24, 0x3f62ad3f, v5, -v45
	v_add_f32_e32 v55, v2, v0
	v_sub_f32_e32 v0, v0, v2
	v_add_f32_e32 v47, v47, v52
	v_fmamk_f32 v39, v5, 0xbf788fa5, v23
	v_add_f32_e32 v24, v24, v37
	v_mul_f32_e32 v37, 0xbe750f2a, v53
	v_fma_f32 v23, 0xbf788fa5, v5, -v23
	v_add_f32_e32 v52, v38, v40
	v_fmamk_f32 v38, v5, 0xbeb58ec6, v4
	v_fma_f32 v2, 0xbeb58ec6, v5, -v4
	v_fma_f32 v4, 0xbf788fa5, v55, -v37
	v_add_f32_e32 v1, v3, v1
	v_mul_f32_e32 v3, 0xbe750f2a, v0
	v_add_f32_e32 v23, v23, v36
	v_mul_f32_e32 v36, 0xbf6f5d39, v42
	v_add_f32_e32 v2, v2, v6
	v_add_f32_e32 v72, v4, v7
	v_fmamk_f32 v6, v1, 0xbf788fa5, v3
	v_fma_f32 v3, 0xbf788fa5, v1, -v3
	v_mul_f32_e32 v7, 0x3eedf032, v0
	v_add_f32_e32 v46, v46, v50
	v_add_f32_e32 v50, v39, v41
	v_fma_f32 v39, 0xbeb58ec6, v48, -v36
	v_fmac_f32_e32 v36, 0xbeb58ec6, v48
	v_mul_f32_e32 v4, 0x3eedf032, v53
	v_add_f32_e32 v128, v3, v9
	v_fmamk_f32 v3, v1, 0x3f62ad3f, v7
	v_fma_f32 v7, 0x3f62ad3f, v1, -v7
	v_add_f32_e32 v5, v36, v11
	v_fma_f32 v11, 0x3f62ad3f, v55, -v4
	v_fmac_f32_e32 v4, 0x3f62ad3f, v55
	v_add_f32_e32 v41, v3, v10
	v_mul_f32_e32 v3, 0xbf29c268, v0
	v_add_f32_e32 v54, v39, v46
	v_add_f32_e32 v75, v38, v47
	;; [unrolled: 1-line block ×3, first 2 shown]
	v_mul_f32_e32 v6, 0xbf29c268, v53
	v_add_f32_e32 v38, v4, v8
	v_add_f32_e32 v39, v7, v15
	v_mul_f32_e32 v4, 0x3f52af12, v53
	v_fmamk_f32 v7, v1, 0xbf3f9e67, v3
	v_add_f32_e32 v49, v49, v43
	v_fmac_f32_e32 v37, 0xbf788fa5, v55
	v_fma_f32 v9, 0xbf3f9e67, v55, -v6
	v_fmac_f32_e32 v6, 0xbf3f9e67, v55
	v_fma_f32 v3, 0xbf3f9e67, v1, -v3
	v_fma_f32 v8, 0x3f116cb1, v55, -v4
	v_add_f32_e32 v43, v7, v19
	v_mul_f32_e32 v7, 0x3f52af12, v0
	v_add_f32_e32 v127, v37, v16
	v_add_f32_e32 v42, v9, v44
	;; [unrolled: 1-line block ×5, first 2 shown]
	v_mul_f32_e32 v3, 0xbf6f5d39, v53
	v_fmamk_f32 v6, v1, 0x3f116cb1, v7
	v_mul_f32_e32 v8, 0xbf6f5d39, v0
	s_load_dwordx2 s[4:5], s[4:5], 0x8
	v_fmac_f32_e32 v4, 0x3f116cb1, v55
	v_fma_f32 v9, 0xbeb58ec6, v55, -v3
	v_add_f32_e32 v45, v6, v50
	v_fmamk_f32 v6, v1, 0xbeb58ec6, v8
	v_fmac_f32_e32 v3, 0xbeb58ec6, v55
	v_fma_f32 v7, 0x3f116cb1, v1, -v7
	v_add_f32_e32 v50, v4, v17
	v_fma_f32 v4, 0xbeb58ec6, v1, -v8
	v_add_f32_e32 v47, v6, v20
	v_mul_f32_e32 v6, 0x3f7e222b, v53
	v_mul_f32_e32 v0, 0x3f7e222b, v0
	v_add_f32_e32 v48, v3, v52
	v_mul_lo_u16 v3, v132, 13
	v_add_f32_e32 v51, v7, v23
	v_add_f32_e32 v46, v9, v49
	;; [unrolled: 1-line block ×3, first 2 shown]
	v_fma_f32 v4, 0x3df6dbef, v55, -v6
	v_fmamk_f32 v7, v1, 0x3df6dbef, v0
	v_fmac_f32_e32 v6, 0x3df6dbef, v55
	v_and_b32_e32 v3, 0xffff, v3
	v_fma_f32 v0, 0x3df6dbef, v1, -v0
	v_add_f32_e32 v40, v11, v22
	v_add_f32_e32 v52, v4, v54
	;; [unrolled: 1-line block ×4, first 2 shown]
	v_lshl_add_u32 v142, v3, 3, v133
	v_add_f32_e32 v55, v0, v2
	v_mul_u32_u24_e32 v137, 13, v74
	s_waitcnt lgkmcnt(0)
	s_barrier
	buffer_gl0_inv
	ds_write2_b64 v142, v[56:57], v[28:29] offset1:1
	ds_write2_b64 v142, v[30:31], v[34:35] offset0:2 offset1:3
	ds_write2_b64 v142, v[62:63], v[70:71] offset0:4 offset1:5
	;; [unrolled: 1-line block ×5, first 2 shown]
	ds_write_b64 v142, v[12:13] offset:96
	s_and_saveexec_b32 s0, vcc_lo
	s_cbranch_execz .LBB0_7
; %bb.6:
	v_lshl_add_u32 v0, v137, 3, v133
	ds_write2_b64 v0, v[68:69], v[72:73] offset1:1
	ds_write2_b64 v0, v[40:41], v[42:43] offset0:2 offset1:3
	ds_write2_b64 v0, v[44:45], v[46:47] offset0:4 offset1:5
	;; [unrolled: 1-line block ×5, first 2 shown]
	ds_write_b64 v0, v[127:128] offset:96
.LBB0_7:
	s_or_b32 exec_lo, exec_lo, s0
	v_add_nc_u32_e32 v0, 0x800, v131
	s_waitcnt lgkmcnt(0)
	s_barrier
	buffer_gl0_inv
	ds_read2_b64 v[24:27], v131 offset1:39
	ds_read2_b64 v[64:67], v131 offset0:182 offset1:221
	ds_read2_b64 v[60:63], v0 offset0:108 offset1:147
	;; [unrolled: 1-line block ×5, first 2 shown]
	v_cmp_gt_u16_e64 s0, 26, v132
	s_and_saveexec_b32 s1, s0
	s_cbranch_execz .LBB0_9
; %bb.8:
	v_add_nc_u32_e32 v0, 0x400, v131
	ds_read2_b64 v[12:15], v0 offset0:28 offset1:210
	ds_read_b64 v[72:73], v131 offset:4160
	s_waitcnt lgkmcnt(1)
	v_mov_b32_e32 v68, v14
	v_mov_b32_e32 v69, v15
.LBB0_9:
	s_or_b32 exec_lo, exec_lo, s1
	v_and_b32_e32 v0, 0xff, v132
	v_and_b32_e32 v1, 0xff, v74
	v_add_nc_u16 v3, v132, 0x75
	v_add_nc_u16 v5, v132, 0x9c
	v_mov_b32_e32 v2, 4
	v_mul_lo_u16 v0, 0x4f, v0
	v_mul_lo_u16 v1, 0x4f, v1
	v_and_b32_e32 v6, 0xff, v3
	v_mov_b32_e32 v14, 39
	v_lshrrev_b16 v15, 10, v0
	v_add_nc_u16 v0, v132, 0x4e
	v_lshrrev_b16 v70, 10, v1
	v_mul_lo_u16 v6, 0x4f, v6
	v_mul_lo_u16 v1, v15, 13
	v_and_b32_e32 v4, 0xff, v0
	v_mul_lo_u16 v7, v70, 13
	v_lshrrev_b16 v76, 10, v6
	v_mul_u32_u24_sdwa v15, v15, v14 dst_sel:DWORD dst_unused:UNUSED_PAD src0_sel:WORD_0 src1_sel:DWORD
	v_sub_nc_u16 v71, v132, v1
	v_mul_lo_u16 v1, 0x4f, v4
	v_and_b32_e32 v4, 0xff, v5
	v_sub_nc_u16 v74, v74, v7
	v_mul_u32_u24_sdwa v70, v70, v14 dst_sel:DWORD dst_unused:UNUSED_PAD src0_sel:WORD_0 src1_sel:DWORD
	v_lshlrev_b32_sdwa v7, v2, v71 dst_sel:DWORD dst_unused:UNUSED_PAD src0_sel:DWORD src1_sel:BYTE_0
	v_lshrrev_b16 v75, 10, v1
	v_mul_lo_u16 v1, 0x4f, v4
	v_lshlrev_b32_sdwa v4, v2, v74 dst_sel:DWORD dst_unused:UNUSED_PAD src0_sel:DWORD src1_sel:BYTE_0
	v_add_nc_u32_sdwa v15, v15, v71 dst_sel:DWORD dst_unused:UNUSED_PAD src0_sel:DWORD src1_sel:BYTE_0
	global_load_dwordx4 v[28:31], v7, s[4:5]
	v_mul_lo_u16 v6, v75, 13
	v_lshrrev_b16 v135, 10, v1
	v_mul_lo_u16 v1, v76, 13
	global_load_dwordx4 v[20:23], v4, s[4:5]
	v_add_nc_u32_sdwa v70, v70, v74 dst_sel:DWORD dst_unused:UNUSED_PAD src0_sel:DWORD src1_sel:BYTE_0
	v_sub_nc_u16 v77, v0, v6
	v_mul_lo_u16 v0, v135, 13
	v_sub_nc_u16 v78, v3, v1
	v_mul_u32_u24_sdwa v71, v75, v14 dst_sel:DWORD dst_unused:UNUSED_PAD src0_sel:WORD_0 src1_sel:DWORD
	v_mul_u32_u24_sdwa v74, v76, v14 dst_sel:DWORD dst_unused:UNUSED_PAD src0_sel:WORD_0 src1_sel:DWORD
	v_lshlrev_b32_sdwa v1, v2, v77 dst_sel:DWORD dst_unused:UNUSED_PAD src0_sel:DWORD src1_sel:BYTE_0
	v_sub_nc_u16 v136, v5, v0
	v_lshlrev_b32_sdwa v0, v2, v78 dst_sel:DWORD dst_unused:UNUSED_PAD src0_sel:DWORD src1_sel:BYTE_0
	v_lshl_add_u32 v141, v15, 3, v133
	v_lshl_add_u32 v140, v70, 3, v133
	global_load_dwordx4 v[16:19], v1, s[4:5]
	v_lshlrev_b32_sdwa v1, v2, v136 dst_sel:DWORD dst_unused:UNUSED_PAD src0_sel:DWORD src1_sel:BYTE_0
	v_add_nc_u32_sdwa v15, v71, v77 dst_sel:DWORD dst_unused:UNUSED_PAD src0_sel:DWORD src1_sel:BYTE_0
	s_clause 0x1
	global_load_dwordx4 v[4:7], v0, s[4:5]
	global_load_dwordx4 v[0:3], v1, s[4:5]
	v_add_nc_u32_sdwa v70, v74, v78 dst_sel:DWORD dst_unused:UNUSED_PAD src0_sel:DWORD src1_sel:BYTE_0
	v_lshl_add_u32 v139, v15, 3, v133
	s_waitcnt vmcnt(0) lgkmcnt(0)
	s_barrier
	buffer_gl0_inv
	v_lshl_add_u32 v138, v70, 3, v133
	v_mul_f32_e32 v15, v65, v29
	v_mul_f32_e32 v70, v64, v29
	;; [unrolled: 1-line block ×8, first 2 shown]
	v_fma_f32 v64, v64, v28, -v15
	v_fmac_f32_e32 v70, v65, v28
	v_fma_f32 v65, v60, v30, -v71
	v_fmac_f32_e32 v74, v61, v30
	;; [unrolled: 2-line block ×4, first 2 shown]
	v_mul_f32_e32 v63, v33, v17
	v_mul_f32_e32 v66, v32, v17
	;; [unrolled: 1-line block ×12, first 2 shown]
	v_fma_f32 v63, v32, v16, -v63
	v_fmac_f32_e32 v66, v33, v16
	v_fma_f32 v67, v56, v18, -v67
	v_fmac_f32_e32 v71, v57, v18
	;; [unrolled: 2-line block ×3, first 2 shown]
	v_fmac_f32_e32 v111, v59, v6
	v_fma_f32 v33, v68, v0, -v112
	v_fmac_f32_e32 v60, v69, v0
	v_fma_f32 v32, v72, v2, -v113
	v_fmac_f32_e32 v15, v73, v2
	v_add_f32_e32 v57, v64, v65
	v_add_f32_e32 v59, v25, v70
	;; [unrolled: 1-line block ×4, first 2 shown]
	v_sub_f32_e32 v73, v76, v78
	v_add_f32_e32 v75, v27, v76
	v_add_f32_e32 v76, v76, v78
	v_fma_f32 v35, v58, v6, -v79
	v_add_f32_e32 v56, v24, v64
	v_sub_f32_e32 v68, v70, v74
	v_sub_f32_e32 v70, v64, v65
	v_add_f32_e32 v64, v26, v61
	v_fma_f32 v58, -0.5, v57, v24
	v_add_f32_e32 v57, v59, v74
	v_fma_f32 v59, -0.5, v69, v25
	v_fma_f32 v26, -0.5, v72, v26
	v_fmac_f32_e32 v27, -0.5, v76
	v_add_f32_e32 v69, v8, v63
	v_add_f32_e32 v72, v63, v67
	;; [unrolled: 1-line block ×3, first 2 shown]
	v_sub_f32_e32 v114, v77, v111
	v_add_f32_e32 v115, v11, v77
	v_add_f32_e32 v77, v77, v111
	;; [unrolled: 1-line block ×4, first 2 shown]
	v_sub_f32_e32 v79, v61, v62
	v_add_f32_e32 v61, v64, v62
	v_add_f32_e32 v62, v75, v78
	;; [unrolled: 1-line block ×3, first 2 shown]
	v_sub_f32_e32 v78, v63, v67
	v_add_f32_e32 v112, v10, v34
	v_add_f32_e32 v113, v34, v35
	v_sub_f32_e32 v34, v34, v35
	v_sub_f32_e32 v24, v60, v15
	;; [unrolled: 1-line block ×3, first 2 shown]
	v_fmamk_f32 v64, v70, 0xbf5db3d7, v59
	v_fmac_f32_e32 v59, 0x3f5db3d7, v70
	v_add_f32_e32 v67, v69, v67
	v_fma_f32 v69, -0.5, v72, v8
	v_fma_f32 v70, -0.5, v76, v9
	v_fmac_f32_e32 v11, -0.5, v77
	v_fma_f32 v8, -0.5, v116, v12
	v_fma_f32 v9, -0.5, v117, v13
	v_sub_f32_e32 v74, v66, v71
	v_add_f32_e32 v56, v56, v65
	v_fmamk_f32 v63, v68, 0x3f5db3d7, v58
	v_fmac_f32_e32 v58, 0xbf5db3d7, v68
	v_add_f32_e32 v68, v75, v71
	v_add_f32_e32 v71, v112, v35
	v_fma_f32 v10, -0.5, v113, v10
	v_fmamk_f32 v76, v34, 0xbf5db3d7, v11
	v_fmac_f32_e32 v11, 0x3f5db3d7, v34
	v_fmamk_f32 v34, v24, 0xbf5db3d7, v8
	v_fmamk_f32 v35, v25, 0x3f5db3d7, v9
	;; [unrolled: 1-line block ×4, first 2 shown]
	v_fmac_f32_e32 v26, 0xbf5db3d7, v73
	v_fmac_f32_e32 v27, 0x3f5db3d7, v79
	v_fmamk_f32 v73, v74, 0x3f5db3d7, v69
	v_fmac_f32_e32 v69, 0xbf5db3d7, v74
	v_fmamk_f32 v74, v78, 0xbf5db3d7, v70
	v_add_f32_e32 v72, v115, v111
	v_fmac_f32_e32 v70, 0x3f5db3d7, v78
	v_fmamk_f32 v75, v114, 0x3f5db3d7, v10
	v_fmac_f32_e32 v10, 0xbf5db3d7, v114
	ds_write2_b64 v141, v[56:57], v[63:64] offset1:13
	ds_write_b64 v141, v[58:59] offset:208
	ds_write2_b64 v140, v[61:62], v[65:66] offset1:13
	ds_write_b64 v140, v[26:27] offset:208
	;; [unrolled: 2-line block ×4, first 2 shown]
	s_and_saveexec_b32 s1, s0
	s_cbranch_execz .LBB0_11
; %bb.10:
	v_mul_u32_u24_sdwa v10, v135, v14 dst_sel:DWORD dst_unused:UNUSED_PAD src0_sel:WORD_0 src1_sel:DWORD
	v_mul_f32_e32 v11, 0x3f5db3d7, v25
	v_mul_f32_e32 v14, 0x3f5db3d7, v24
	v_add_f32_e32 v13, v13, v60
	v_add_f32_e32 v12, v12, v33
	v_add_nc_u32_sdwa v24, v10, v136 dst_sel:DWORD dst_unused:UNUSED_PAD src0_sel:DWORD src1_sel:BYTE_0
	v_sub_f32_e32 v9, v9, v11
	v_add_f32_e32 v8, v14, v8
	v_add_f32_e32 v11, v13, v15
	;; [unrolled: 1-line block ×3, first 2 shown]
	v_lshl_add_u32 v12, v24, 3, v133
	ds_write2_b64 v12, v[10:11], v[8:9] offset1:13
	ds_write_b64 v12, v[34:35] offset:208
.LBB0_11:
	s_or_b32 exec_lo, exec_lo, s1
	v_mad_u64_u32 v[32:33], null, v132, 48, s[4:5]
	s_waitcnt lgkmcnt(0)
	s_barrier
	buffer_gl0_inv
	v_add_nc_u32_e32 v58, 0x400, v131
	v_add_nc_u32_e32 v72, 0x800, v131
	v_mul_i32_i24_e32 v57, 0xffffffd8, v132
	s_clause 0x2
	global_load_dwordx4 v[24:27], v[32:33], off offset:208
	global_load_dwordx4 v[12:15], v[32:33], off offset:224
	;; [unrolled: 1-line block ×3, first 2 shown]
	ds_read2_b64 v[59:62], v131 offset1:39
	ds_read2_b64 v[63:66], v131 offset0:78 offset1:117
	ds_read2_b64 v[67:70], v131 offset0:156 offset1:195
	;; [unrolled: 1-line block ×6, first 2 shown]
	v_mul_hi_i32_i24_e32 v56, 0xffffffd8, v132
	v_add_co_u32 v32, s1, v32, v57
	s_waitcnt vmcnt(0) lgkmcnt(0)
	s_barrier
	v_add_co_ci_u32_e64 v33, s1, v33, v56, s1
	v_add_co_u32 v32, s1, 0x800, v32
	buffer_gl0_inv
	v_add_co_ci_u32_e64 v33, s1, 0, v33, s1
	v_mul_f32_e32 v56, v64, v25
	v_mul_f32_e32 v57, v63, v25
	;; [unrolled: 1-line block ×24, first 2 shown]
	v_fma_f32 v56, v63, v24, -v56
	v_fmac_f32_e32 v57, v64, v24
	v_fma_f32 v63, v67, v26, -v71
	v_fmac_f32_e32 v77, v68, v26
	v_fma_f32 v68, v115, v8, -v125
	v_fmac_f32_e32 v126, v116, v8
	v_fma_f32 v71, v119, v10, -v129
	v_fmac_f32_e32 v130, v120, v10
	v_fma_f32 v64, v73, v12, -v78
	v_fmac_f32_e32 v79, v74, v12
	v_fma_f32 v67, v111, v14, -v123
	v_fmac_f32_e32 v124, v112, v14
	v_fma_f32 v65, v65, v24, -v134
	v_fmac_f32_e32 v143, v66, v24
	v_fma_f32 v66, v69, v26, -v144
	v_fmac_f32_e32 v145, v70, v26
	v_fma_f32 v73, v117, v8, -v150
	v_fmac_f32_e32 v151, v118, v8
	v_fma_f32 v74, v121, v10, -v152
	v_fmac_f32_e32 v153, v122, v10
	v_fma_f32 v69, v75, v12, -v146
	v_fmac_f32_e32 v147, v76, v12
	v_fma_f32 v70, v113, v14, -v148
	v_fmac_f32_e32 v149, v114, v14
	v_add_f32_e32 v75, v56, v71
	v_add_f32_e32 v76, v57, v130
	v_sub_f32_e32 v56, v56, v71
	v_add_f32_e32 v71, v63, v68
	v_add_f32_e32 v78, v77, v126
	v_sub_f32_e32 v63, v63, v68
	v_sub_f32_e32 v68, v77, v126
	v_add_f32_e32 v77, v64, v67
	v_add_f32_e32 v111, v79, v124
	v_sub_f32_e32 v64, v67, v64
	v_sub_f32_e32 v67, v124, v79
	v_add_f32_e32 v79, v65, v74
	v_add_f32_e32 v112, v143, v153
	;; [unrolled: 1-line block ×4, first 2 shown]
	v_sub_f32_e32 v57, v57, v130
	v_sub_f32_e32 v65, v65, v74
	;; [unrolled: 1-line block ×5, first 2 shown]
	v_add_f32_e32 v115, v69, v70
	v_add_f32_e32 v116, v147, v149
	v_sub_f32_e32 v69, v70, v69
	v_sub_f32_e32 v70, v149, v147
	v_add_f32_e32 v117, v71, v75
	v_add_f32_e32 v118, v78, v76
	;; [unrolled: 1-line block ×4, first 2 shown]
	v_sub_f32_e32 v119, v71, v75
	v_sub_f32_e32 v120, v78, v76
	;; [unrolled: 1-line block ×6, first 2 shown]
	v_add_f32_e32 v121, v64, v63
	v_add_f32_e32 v122, v67, v68
	v_sub_f32_e32 v123, v64, v63
	v_sub_f32_e32 v124, v67, v68
	;; [unrolled: 1-line block ×10, first 2 shown]
	v_add_f32_e32 v134, v69, v66
	v_add_f32_e32 v143, v70, v73
	v_sub_f32_e32 v144, v69, v66
	v_sub_f32_e32 v145, v70, v73
	;; [unrolled: 1-line block ×4, first 2 shown]
	v_add_f32_e32 v77, v77, v117
	v_add_f32_e32 v111, v111, v118
	;; [unrolled: 1-line block ×4, first 2 shown]
	v_sub_f32_e32 v64, v56, v64
	v_sub_f32_e32 v67, v57, v67
	;; [unrolled: 1-line block ×4, first 2 shown]
	v_add_f32_e32 v117, v121, v56
	v_add_f32_e32 v118, v122, v57
	v_mul_f32_e32 v75, 0x3f4a47b2, v75
	v_mul_f32_e32 v76, 0x3f4a47b2, v76
	;; [unrolled: 1-line block ×8, first 2 shown]
	v_add_f32_e32 v65, v134, v65
	v_add_f32_e32 v74, v143, v74
	v_mul_f32_e32 v79, 0x3f4a47b2, v79
	v_mul_f32_e32 v112, 0x3f4a47b2, v112
	;; [unrolled: 1-line block ×8, first 2 shown]
	v_add_f32_e32 v56, v59, v77
	v_add_f32_e32 v57, v60, v111
	;; [unrolled: 1-line block ×4, first 2 shown]
	v_fmamk_f32 v71, v71, 0x3d64c772, v75
	v_fmamk_f32 v78, v78, 0x3d64c772, v76
	v_fma_f32 v121, 0x3f3bfb3b, v119, -v121
	v_fma_f32 v122, 0x3f3bfb3b, v120, -v122
	v_fma_f32 v75, 0xbf3bfb3b, v119, -v75
	v_fma_f32 v76, 0xbf3bfb3b, v120, -v76
	v_fmamk_f32 v119, v64, 0x3eae86e6, v123
	v_fmamk_f32 v120, v67, 0x3eae86e6, v124
	v_fma_f32 v123, 0x3f5ff5aa, v63, -v123
	v_fma_f32 v68, 0x3f5ff5aa, v68, -v124
	v_fma_f32 v124, 0xbeae86e6, v64, -v146
	v_fma_f32 v146, 0xbeae86e6, v67, -v147
	v_fmamk_f32 v61, v113, 0x3d64c772, v79
	v_fmamk_f32 v62, v114, 0x3d64c772, v112
	v_fma_f32 v63, 0x3f3bfb3b, v129, -v125
	v_fma_f32 v64, 0x3f3bfb3b, v130, -v126
	v_fma_f32 v67, 0xbf3bfb3b, v129, -v79
	v_fma_f32 v79, 0xbf3bfb3b, v130, -v112
	v_fmamk_f32 v125, v69, 0x3eae86e6, v134
	v_fmamk_f32 v126, v70, 0x3eae86e6, v143
	v_fma_f32 v114, 0x3f5ff5aa, v66, -v134
	v_fma_f32 v113, 0x3f5ff5aa, v73, -v143
	v_fma_f32 v129, 0xbeae86e6, v69, -v144
	v_fma_f32 v130, 0xbeae86e6, v70, -v145
	v_fmamk_f32 v66, v77, 0xbf955555, v56
	v_fmamk_f32 v69, v111, 0xbf955555, v57
	;; [unrolled: 1-line block ×4, first 2 shown]
	v_fmac_f32_e32 v119, 0x3ee1c552, v117
	v_fmac_f32_e32 v120, 0x3ee1c552, v118
	;; [unrolled: 1-line block ×5, first 2 shown]
	v_add_f32_e32 v71, v71, v66
	v_add_f32_e32 v74, v78, v69
	v_fmac_f32_e32 v123, 0x3ee1c552, v117
	v_fmac_f32_e32 v68, 0x3ee1c552, v118
	v_fmac_f32_e32 v124, 0x3ee1c552, v117
	v_fmac_f32_e32 v146, 0x3ee1c552, v118
	v_add_f32_e32 v77, v121, v66
	v_add_f32_e32 v78, v122, v69
	;; [unrolled: 1-line block ×4, first 2 shown]
	v_fmac_f32_e32 v125, 0x3ee1c552, v65
	v_fmac_f32_e32 v114, 0x3ee1c552, v65
	;; [unrolled: 1-line block ×3, first 2 shown]
	v_add_f32_e32 v117, v61, v70
	v_add_f32_e32 v118, v62, v73
	;; [unrolled: 1-line block ×7, first 2 shown]
	v_sub_f32_e32 v62, v74, v119
	v_add_f32_e32 v63, v146, v75
	v_sub_f32_e32 v64, v76, v124
	v_sub_f32_e32 v65, v77, v68
	v_add_f32_e32 v66, v123, v78
	v_add_f32_e32 v67, v68, v77
	v_sub_f32_e32 v68, v78, v123
	v_sub_f32_e32 v69, v75, v146
	v_add_f32_e32 v70, v124, v76
	v_sub_f32_e32 v73, v71, v120
	v_add_f32_e32 v74, v119, v74
	v_add_f32_e32 v75, v126, v117
	v_sub_f32_e32 v76, v118, v125
	v_add_f32_e32 v77, v130, v121
	v_sub_f32_e32 v78, v79, v129
	v_sub_f32_e32 v111, v115, v113
	v_add_f32_e32 v112, v114, v116
	v_add_f32_e32 v113, v113, v115
	v_sub_f32_e32 v114, v116, v114
	v_sub_f32_e32 v115, v121, v130
	v_add_f32_e32 v116, v129, v79
	v_sub_f32_e32 v117, v117, v126
	v_add_f32_e32 v118, v125, v118
	ds_write2_b64 v131, v[56:57], v[61:62] offset1:39
	ds_write2_b64 v131, v[63:64], v[65:66] offset0:78 offset1:117
	ds_write2_b64 v131, v[67:68], v[69:70] offset0:156 offset1:195
	;; [unrolled: 1-line block ×6, first 2 shown]
	s_waitcnt lgkmcnt(0)
	s_barrier
	buffer_gl0_inv
	s_clause 0x6
	global_load_dwordx2 v[121:122], v[32:33], off offset:32
	global_load_dwordx2 v[125:126], v[32:33], off offset:344
	;; [unrolled: 1-line block ×7, first 2 shown]
	ds_read2_b64 v[60:63], v58 offset0:106 offset1:145
	ds_read2_b64 v[64:67], v72 offset0:56 offset1:95
	;; [unrolled: 1-line block ×4, first 2 shown]
	ds_read2_b64 v[143:146], v131 offset1:39
	ds_read2_b64 v[147:150], v131 offset0:78 offset1:117
	ds_read2_b64 v[151:154], v131 offset0:156 offset1:195
	v_lshl_add_u32 v134, v132, 3, v133
	v_add_co_u32 v56, s1, 0x1110, v82
	v_add_co_ci_u32_e64 v57, s1, 0, v83, s1
	v_add_nc_u32_e32 v59, 0x800, v134
	v_add_co_u32 v111, s1, 0x1000, v82
	v_add_co_ci_u32_e64 v112, s1, 0, v83, s1
	s_waitcnt vmcnt(6) lgkmcnt(6)
	v_mul_f32_e32 v32, v63, v122
	v_mul_f32_e32 v33, v62, v122
	s_waitcnt vmcnt(5) lgkmcnt(5)
	v_mul_f32_e32 v77, v65, v126
	v_mul_f32_e32 v78, v64, v126
	s_waitcnt vmcnt(4)
	v_mul_f32_e32 v79, v67, v118
	v_mul_f32_e32 v129, v66, v118
	s_waitcnt vmcnt(0) lgkmcnt(3)
	v_mul_f32_e32 v160, v76, v120
	v_mul_f32_e32 v130, v69, v124
	;; [unrolled: 1-line block ×8, first 2 shown]
	v_fma_f32 v32, v62, v121, -v32
	v_fmac_f32_e32 v33, v63, v121
	v_fma_f32 v64, v64, v125, -v77
	v_fmac_f32_e32 v78, v65, v125
	;; [unrolled: 2-line block ×3, first 2 shown]
	v_fma_f32 v75, v75, v119, -v160
	v_fma_f32 v68, v68, v123, -v130
	v_fmac_f32_e32 v155, v69, v123
	v_fma_f32 v70, v70, v113, -v156
	v_fmac_f32_e32 v157, v71, v113
	v_fma_f32 v73, v73, v115, -v158
	v_fmac_f32_e32 v159, v74, v115
	v_fmac_f32_e32 v161, v76, v119
	s_waitcnt lgkmcnt(2)
	v_sub_f32_e32 v62, v143, v32
	v_sub_f32_e32 v63, v144, v33
	;; [unrolled: 1-line block ×4, first 2 shown]
	s_waitcnt lgkmcnt(1)
	v_sub_f32_e32 v66, v147, v66
	v_sub_f32_e32 v67, v148, v129
	;; [unrolled: 1-line block ×5, first 2 shown]
	s_waitcnt lgkmcnt(0)
	v_sub_f32_e32 v70, v151, v70
	v_sub_f32_e32 v71, v152, v157
	;; [unrolled: 1-line block ×5, first 2 shown]
	v_fma_f32 v75, v143, 2.0, -v62
	v_fma_f32 v76, v144, 2.0, -v63
	;; [unrolled: 1-line block ×14, first 2 shown]
	ds_write2_b64 v59, v[62:63], v[64:65] offset0:17 offset1:56
	ds_write2_b64 v59, v[66:67], v[68:69] offset0:95 offset1:134
	ds_write_b64 v134, v[70:71] offset:3432
	ds_write_b64 v131, v[75:76]
	ds_write2_b64 v134, v[77:78], v[129:130] offset0:39 offset1:78
	ds_write2_b64 v134, v[143:144], v[145:146] offset0:117 offset1:156
	ds_write_b64 v134, v[147:148] offset:1560
	ds_write_b64 v131, v[73:74] offset:3744
	;; [unrolled: 1-line block ×4, first 2 shown]
	v_add_co_u32 v60, s1, 0x1800, v82
	v_add_co_ci_u32_e64 v61, s1, 0, v83, s1
	v_add_co_u32 v62, s1, 0x2000, v82
	s_waitcnt lgkmcnt(0)
	s_barrier
	buffer_gl0_inv
	s_clause 0x3
	global_load_dwordx2 v[77:78], v[111:112], off offset:272
	global_load_dwordx2 v[129:130], v[56:57], off offset:336
	;; [unrolled: 1-line block ×4, first 2 shown]
	v_add_co_ci_u32_e64 v63, s1, 0, v83, s1
	s_clause 0x8
	global_load_dwordx2 v[155:156], v[56:57], off offset:1344
	global_load_dwordx2 v[157:158], v[56:57], off offset:1680
	;; [unrolled: 1-line block ×9, first 2 shown]
	ds_read2_b64 v[60:63], v131 offset1:42
	ds_read2_b64 v[64:67], v131 offset0:84 offset1:126
	ds_read2_b64 v[68:71], v131 offset0:168 offset1:210
	;; [unrolled: 1-line block ×5, first 2 shown]
	ds_read_b64 v[173:174], v131 offset:4032
	s_waitcnt vmcnt(12) lgkmcnt(6)
	v_mul_f32_e32 v175, v61, v78
	v_mul_f32_e32 v79, v60, v78
	s_waitcnt vmcnt(11)
	v_mul_f32_e32 v177, v63, v130
	v_mul_f32_e32 v176, v62, v130
	s_waitcnt vmcnt(10) lgkmcnt(5)
	v_mul_f32_e32 v178, v65, v152
	v_mul_f32_e32 v130, v64, v152
	s_waitcnt vmcnt(9)
	v_mul_f32_e32 v179, v67, v154
	v_mul_f32_e32 v152, v66, v154
	;; [unrolled: 6-line block ×6, first 2 shown]
	s_waitcnt vmcnt(0) lgkmcnt(0)
	v_mul_f32_e32 v188, v174, v172
	v_mul_f32_e32 v170, v173, v172
	v_fma_f32 v78, v60, v77, -v175
	v_fmac_f32_e32 v79, v61, v77
	v_fma_f32 v175, v62, v129, -v177
	v_fmac_f32_e32 v176, v63, v129
	;; [unrolled: 2-line block ×13, first 2 shown]
	ds_write2_b64 v131, v[78:79], v[175:176] offset1:42
	ds_write2_b64 v131, v[129:130], v[151:152] offset0:84 offset1:126
	ds_write2_b64 v131, v[153:154], v[155:156] offset0:168 offset1:210
	;; [unrolled: 1-line block ×5, first 2 shown]
	ds_write_b64 v131, v[169:170] offset:4032
	s_and_saveexec_b32 s4, vcc_lo
	s_cbranch_execz .LBB0_13
; %bb.12:
	v_add_co_u32 v60, s1, 0x800, v56
	v_add_co_ci_u32_e64 v61, s1, 0, v57, s1
	s_clause 0x5
	global_load_dwordx2 v[77:78], v[56:57], off offset:312
	global_load_dwordx2 v[129:130], v[56:57], off offset:648
	;; [unrolled: 1-line block ×6, first 2 shown]
	v_add_co_u32 v56, s1, 0x1000, v56
	v_add_co_ci_u32_e64 v57, s1, 0, v57, s1
	s_clause 0x6
	global_load_dwordx2 v[159:160], v[60:61], off offset:280
	global_load_dwordx2 v[161:162], v[60:61], off offset:616
	;; [unrolled: 1-line block ×7, first 2 shown]
	ds_read2_b64 v[60:63], v134 offset0:39 offset1:81
	ds_read2_b64 v[64:67], v134 offset0:123 offset1:165
	;; [unrolled: 1-line block ×6, first 2 shown]
	ds_read_b64 v[171:172], v134 offset:4344
	s_waitcnt vmcnt(12) lgkmcnt(6)
	v_mul_f32_e32 v173, v61, v78
	v_mul_f32_e32 v79, v60, v78
	s_waitcnt vmcnt(11)
	v_mul_f32_e32 v175, v63, v130
	v_mul_f32_e32 v174, v62, v130
	s_waitcnt vmcnt(10) lgkmcnt(5)
	v_mul_f32_e32 v176, v65, v152
	v_mul_f32_e32 v130, v64, v152
	s_waitcnt vmcnt(9)
	v_mul_f32_e32 v177, v67, v154
	v_mul_f32_e32 v152, v66, v154
	s_waitcnt vmcnt(8) lgkmcnt(4)
	v_mul_f32_e32 v178, v69, v156
	v_mul_f32_e32 v154, v68, v156
	s_waitcnt vmcnt(7)
	v_mul_f32_e32 v179, v71, v158
	v_mul_f32_e32 v156, v70, v158
	v_fma_f32 v78, v60, v77, -v173
	v_fmac_f32_e32 v79, v61, v77
	v_fma_f32 v173, v62, v129, -v175
	v_fmac_f32_e32 v174, v63, v129
	s_waitcnt vmcnt(6) lgkmcnt(3)
	v_mul_f32_e32 v60, v74, v160
	v_mul_f32_e32 v61, v73, v160
	s_waitcnt vmcnt(5)
	v_mul_f32_e32 v62, v76, v162
	v_mul_f32_e32 v63, v75, v162
	v_fma_f32 v129, v64, v151, -v176
	v_fmac_f32_e32 v130, v65, v151
	v_fma_f32 v151, v66, v153, -v177
	v_fmac_f32_e32 v152, v67, v153
	s_waitcnt vmcnt(4) lgkmcnt(2)
	v_mul_f32_e32 v64, v144, v164
	v_mul_f32_e32 v65, v143, v164
	s_waitcnt vmcnt(3)
	v_mul_f32_e32 v66, v146, v166
	v_mul_f32_e32 v67, v145, v166
	;; [unrolled: 10-line block ×3, first 2 shown]
	s_waitcnt vmcnt(0) lgkmcnt(0)
	v_mul_f32_e32 v157, v172, v57
	v_mul_f32_e32 v77, v171, v57
	v_fma_f32 v60, v73, v159, -v60
	v_fmac_f32_e32 v61, v74, v159
	v_fma_f32 v62, v75, v161, -v62
	v_fmac_f32_e32 v63, v76, v161
	;; [unrolled: 2-line block ×7, first 2 shown]
	ds_write2_b64 v134, v[78:79], v[173:174] offset0:39 offset1:81
	ds_write2_b64 v134, v[129:130], v[151:152] offset0:123 offset1:165
	;; [unrolled: 1-line block ×6, first 2 shown]
	ds_write_b64 v134, v[76:77] offset:4344
.LBB0_13:
	s_or_b32 exec_lo, exec_lo, s4
	s_waitcnt lgkmcnt(0)
	s_barrier
	buffer_gl0_inv
	ds_read2_b64 v[76:79], v131 offset1:42
	ds_read2_b64 v[68:71], v131 offset0:84 offset1:126
	ds_read2_b64 v[60:63], v131 offset0:168 offset1:210
	;; [unrolled: 1-line block ×5, first 2 shown]
	ds_read_b64 v[129:130], v131 offset:4032
	s_and_saveexec_b32 s1, vcc_lo
	s_cbranch_execz .LBB0_15
; %bb.14:
	v_add_nc_u32_e32 v36, 0x800, v134
	ds_read2_b64 v[32:35], v134 offset0:39 offset1:81
	ds_read2_b64 v[40:43], v134 offset0:123 offset1:165
	;; [unrolled: 1-line block ×6, first 2 shown]
	ds_read_b64 v[127:128], v134 offset:4344
.LBB0_15:
	s_or_b32 exec_lo, exec_lo, s1
	s_waitcnt lgkmcnt(6)
	v_add_f32_e32 v143, v76, v78
	v_add_f32_e32 v144, v77, v79
	s_waitcnt lgkmcnt(0)
	v_sub_f32_e32 v146, v79, v130
	v_add_f32_e32 v147, v130, v79
	v_add_f32_e32 v145, v129, v78
	;; [unrolled: 1-line block ×4, first 2 shown]
	v_sub_f32_e32 v148, v78, v129
	v_mul_f32_e32 v78, 0xbeedf032, v146
	v_mul_f32_e32 v149, 0xbf52af12, v146
	v_add_f32_e32 v79, v143, v70
	v_add_f32_e32 v143, v144, v71
	v_mul_f32_e32 v144, 0x3f62ad3f, v147
	v_fmamk_f32 v154, v145, 0x3f62ad3f, v78
	v_fma_f32 v78, 0x3f62ad3f, v145, -v78
	v_add_f32_e32 v79, v79, v60
	v_add_f32_e32 v143, v143, v61
	v_mul_f32_e32 v150, 0x3f116cb1, v147
	v_mul_f32_e32 v151, 0xbf7e222b, v146
	v_mul_f32_e32 v152, 0x3df6dbef, v147
	v_add_f32_e32 v79, v79, v62
	v_add_f32_e32 v143, v143, v63
	;; [unrolled: 1-line block ×3, first 2 shown]
	v_fmamk_f32 v155, v148, 0x3eedf032, v144
	v_fmac_f32_e32 v144, 0xbeedf032, v148
	v_add_f32_e32 v79, v79, v56
	v_add_f32_e32 v143, v143, v57
	v_fmamk_f32 v156, v145, 0x3f116cb1, v149
	v_fmamk_f32 v157, v148, 0x3f52af12, v150
	v_fmamk_f32 v158, v145, 0x3df6dbef, v151
	v_add_f32_e32 v79, v79, v58
	v_add_f32_e32 v143, v143, v59
	v_fmamk_f32 v159, v148, 0x3f7e222b, v152
	v_sub_f32_e32 v166, v69, v75
	v_mul_f32_e32 v153, 0xbf6f5d39, v146
	v_add_f32_e32 v79, v79, v64
	v_add_f32_e32 v143, v143, v65
	v_mul_f32_e32 v162, 0xbf3f9e67, v147
	v_add_f32_e32 v168, v74, v68
	v_mul_f32_e32 v169, 0xbf52af12, v166
	v_add_f32_e32 v79, v79, v66
	v_add_f32_e32 v143, v143, v67
	v_fma_f32 v149, 0x3f116cb1, v145, -v149
	v_fmac_f32_e32 v150, 0xbf52af12, v148
	v_fma_f32 v151, 0x3df6dbef, v145, -v151
	v_add_f32_e32 v78, v79, v72
	v_add_f32_e32 v79, v143, v73
	;; [unrolled: 1-line block ×8, first 2 shown]
	v_mul_f32_e32 v158, 0xbeb58ec6, v147
	v_mul_f32_e32 v147, 0xbf788fa5, v147
	v_fmac_f32_e32 v152, 0xbf7e222b, v148
	v_add_f32_e32 v79, v79, v130
	v_add_f32_e32 v130, v77, v159
	v_mul_f32_e32 v159, 0xbf29c268, v146
	v_mul_f32_e32 v146, 0xbe750f2a, v146
	v_add_f32_e32 v154, v76, v154
	v_add_f32_e32 v78, v78, v129
	v_fmamk_f32 v129, v145, 0xbeb58ec6, v153
	v_fmamk_f32 v161, v148, 0x3f6f5d39, v158
	v_fma_f32 v153, 0xbeb58ec6, v145, -v153
	v_fmac_f32_e32 v158, 0xbf6f5d39, v148
	v_fmamk_f32 v163, v145, 0xbf3f9e67, v159
	v_fmamk_f32 v164, v148, 0x3f29c268, v162
	v_fma_f32 v159, 0xbf3f9e67, v145, -v159
	v_fmac_f32_e32 v162, 0xbf29c268, v148
	v_fmamk_f32 v165, v145, 0xbf788fa5, v146
	v_fmamk_f32 v167, v148, 0x3e750f2a, v147
	v_add_f32_e32 v69, v75, v69
	v_fma_f32 v75, 0xbf788fa5, v145, -v146
	v_fmac_f32_e32 v147, 0xbe750f2a, v148
	v_fmamk_f32 v145, v168, 0x3f116cb1, v169
	v_add_f32_e32 v155, v77, v155
	v_add_f32_e32 v149, v76, v149
	;; [unrolled: 1-line block ×15, first 2 shown]
	v_sub_f32_e32 v68, v68, v74
	v_mul_f32_e32 v74, 0x3f116cb1, v69
	v_add_f32_e32 v75, v76, v75
	v_add_f32_e32 v76, v77, v147
	;; [unrolled: 1-line block ×3, first 2 shown]
	v_mul_f32_e32 v145, 0xbf6f5d39, v166
	v_fmamk_f32 v146, v68, 0x3f52af12, v74
	v_fmac_f32_e32 v74, 0xbf52af12, v68
	v_mul_f32_e32 v148, 0xbeb58ec6, v69
	v_fma_f32 v147, 0x3f116cb1, v168, -v169
	v_fmamk_f32 v154, v168, 0xbeb58ec6, v145
	v_add_f32_e32 v146, v146, v155
	v_add_f32_e32 v74, v74, v143
	v_fmamk_f32 v143, v68, 0x3f6f5d39, v148
	v_fma_f32 v145, 0xbeb58ec6, v168, -v145
	v_add_f32_e32 v144, v154, v144
	v_mul_f32_e32 v154, 0xbe750f2a, v166
	v_fmac_f32_e32 v148, 0xbf6f5d39, v68
	v_mul_f32_e32 v155, 0xbf788fa5, v69
	v_add_f32_e32 v143, v143, v156
	v_add_f32_e32 v145, v145, v149
	v_fmamk_f32 v156, v168, 0xbf788fa5, v154
	v_add_f32_e32 v148, v148, v150
	v_mul_f32_e32 v149, 0x3f29c268, v166
	v_fmamk_f32 v150, v68, 0x3e750f2a, v155
	v_fma_f32 v154, 0xbf788fa5, v168, -v154
	v_add_f32_e32 v156, v156, v157
	v_fmac_f32_e32 v155, 0xbe750f2a, v68
	v_fmamk_f32 v157, v168, 0xbf3f9e67, v149
	v_add_f32_e32 v130, v150, v130
	v_mul_f32_e32 v150, 0xbf3f9e67, v69
	v_add_f32_e32 v151, v154, v151
	v_mul_f32_e32 v154, 0x3f7e222b, v166
	v_add_f32_e32 v147, v147, v160
	v_add_f32_e32 v152, v155, v152
	;; [unrolled: 1-line block ×3, first 2 shown]
	v_fmamk_f32 v155, v68, 0xbf29c268, v150
	v_fma_f32 v149, 0xbf3f9e67, v168, -v149
	v_mul_f32_e32 v157, 0x3df6dbef, v69
	v_fmac_f32_e32 v150, 0x3f29c268, v68
	v_fmamk_f32 v160, v168, 0x3df6dbef, v154
	v_fma_f32 v154, 0x3df6dbef, v168, -v154
	v_add_f32_e32 v149, v149, v153
	v_fmamk_f32 v153, v68, 0xbf7e222b, v157
	v_add_f32_e32 v150, v150, v158
	v_add_f32_e32 v158, v160, v163
	v_mul_f32_e32 v160, 0x3eedf032, v166
	v_mul_f32_e32 v69, 0x3f62ad3f, v69
	v_fmac_f32_e32 v157, 0x3f7e222b, v68
	v_add_f32_e32 v154, v154, v159
	v_sub_f32_e32 v159, v71, v73
	v_add_f32_e32 v71, v73, v71
	v_add_f32_e32 v153, v153, v164
	v_fmamk_f32 v163, v68, 0xbeedf032, v69
	v_add_f32_e32 v157, v157, v162
	v_add_f32_e32 v162, v72, v70
	v_mul_f32_e32 v164, 0xbf7e222b, v159
	v_fma_f32 v73, 0x3f62ad3f, v168, -v160
	v_fmac_f32_e32 v69, 0x3eedf032, v68
	v_sub_f32_e32 v70, v70, v72
	v_mul_f32_e32 v72, 0x3df6dbef, v71
	v_add_f32_e32 v155, v155, v161
	v_fmamk_f32 v161, v168, 0x3f62ad3f, v160
	v_fmamk_f32 v68, v162, 0x3df6dbef, v164
	v_add_f32_e32 v73, v73, v75
	v_add_f32_e32 v69, v69, v76
	v_mul_f32_e32 v75, 0xbe750f2a, v159
	v_fmamk_f32 v76, v70, 0x3f7e222b, v72
	v_fmac_f32_e32 v72, 0xbf7e222b, v70
	v_mul_f32_e32 v160, 0xbf788fa5, v71
	v_add_f32_e32 v68, v68, v77
	v_fma_f32 v77, 0x3df6dbef, v162, -v164
	v_fmamk_f32 v164, v162, 0xbf788fa5, v75
	v_add_f32_e32 v76, v76, v146
	v_add_f32_e32 v72, v72, v74
	v_fmamk_f32 v74, v70, 0x3e750f2a, v160
	v_mul_f32_e32 v146, 0x3f6f5d39, v159
	v_fma_f32 v75, 0xbf788fa5, v162, -v75
	v_fmac_f32_e32 v160, 0xbe750f2a, v70
	v_add_f32_e32 v77, v77, v147
	v_add_f32_e32 v74, v74, v143
	v_mul_f32_e32 v143, 0xbeb58ec6, v71
	v_fmamk_f32 v147, v162, 0xbeb58ec6, v146
	v_add_f32_e32 v75, v75, v145
	v_add_f32_e32 v145, v160, v148
	v_mul_f32_e32 v148, 0x3eedf032, v159
	v_fma_f32 v146, 0xbeb58ec6, v162, -v146
	v_fmamk_f32 v160, v70, 0xbf6f5d39, v143
	v_add_f32_e32 v147, v147, v156
	v_add_f32_e32 v144, v164, v144
	v_fmamk_f32 v156, v162, 0x3f62ad3f, v148
	v_add_f32_e32 v146, v146, v151
	v_mul_f32_e32 v151, 0xbf52af12, v159
	v_fmac_f32_e32 v143, 0x3f6f5d39, v70
	v_add_f32_e32 v130, v160, v130
	v_mul_f32_e32 v160, 0x3f62ad3f, v71
	v_add_f32_e32 v129, v156, v129
	v_fma_f32 v148, 0x3f62ad3f, v162, -v148
	v_mul_f32_e32 v156, 0x3f116cb1, v71
	v_fmamk_f32 v164, v162, 0x3f116cb1, v151
	v_fma_f32 v151, 0x3f116cb1, v162, -v151
	v_add_f32_e32 v143, v143, v152
	v_fmamk_f32 v152, v70, 0xbeedf032, v160
	v_fmac_f32_e32 v160, 0x3eedf032, v70
	v_add_f32_e32 v148, v148, v149
	v_fmamk_f32 v149, v70, 0x3f52af12, v156
	v_mul_f32_e32 v71, 0xbf3f9e67, v71
	v_fmac_f32_e32 v156, 0xbf52af12, v70
	v_add_f32_e32 v151, v151, v154
	v_sub_f32_e32 v154, v61, v67
	v_add_f32_e32 v61, v67, v61
	v_add_f32_e32 v152, v152, v155
	;; [unrolled: 1-line block ×4, first 2 shown]
	v_mul_f32_e32 v158, 0xbf29c268, v159
	v_fmamk_f32 v159, v70, 0x3f29c268, v71
	v_add_f32_e32 v156, v156, v157
	v_add_f32_e32 v157, v66, v60
	v_mul_f32_e32 v160, 0xbf6f5d39, v154
	v_fmac_f32_e32 v71, 0xbf29c268, v70
	v_sub_f32_e32 v60, v60, v66
	v_mul_f32_e32 v66, 0xbeb58ec6, v61
	v_add_f32_e32 v149, v149, v153
	v_fmamk_f32 v153, v162, 0xbf3f9e67, v158
	v_fma_f32 v67, 0xbf3f9e67, v162, -v158
	v_fmamk_f32 v70, v157, 0xbeb58ec6, v160
	v_add_f32_e32 v69, v71, v69
	v_fmamk_f32 v71, v60, 0x3f6f5d39, v66
	v_fmac_f32_e32 v66, 0xbf6f5d39, v60
	v_mul_f32_e32 v158, 0xbf3f9e67, v61
	v_add_f32_e32 v67, v67, v73
	v_add_f32_e32 v68, v70, v68
	v_mul_f32_e32 v70, 0x3f29c268, v154
	v_fma_f32 v73, 0xbeb58ec6, v157, -v160
	v_add_f32_e32 v66, v66, v72
	v_fmamk_f32 v72, v60, 0xbf29c268, v158
	v_fmac_f32_e32 v158, 0x3f29c268, v60
	v_fmamk_f32 v160, v157, 0xbf3f9e67, v70
	v_add_f32_e32 v73, v73, v77
	v_mul_f32_e32 v77, 0x3eedf032, v154
	v_fma_f32 v70, 0xbf3f9e67, v157, -v70
	v_add_f32_e32 v72, v72, v74
	v_mul_f32_e32 v74, 0x3f62ad3f, v61
	v_add_f32_e32 v71, v71, v76
	v_add_f32_e32 v76, v160, v144
	v_fmamk_f32 v144, v157, 0x3f62ad3f, v77
	v_add_f32_e32 v70, v70, v75
	v_add_f32_e32 v75, v158, v145
	v_mul_f32_e32 v145, 0xbf7e222b, v154
	v_fmamk_f32 v158, v60, 0xbeedf032, v74
	v_add_f32_e32 v144, v144, v147
	v_fma_f32 v77, 0x3f62ad3f, v157, -v77
	v_fmac_f32_e32 v74, 0x3eedf032, v60
	v_fmamk_f32 v147, v157, 0x3df6dbef, v145
	v_add_f32_e32 v130, v158, v130
	v_mul_f32_e32 v158, 0x3df6dbef, v61
	v_add_f32_e32 v77, v77, v146
	v_add_f32_e32 v74, v74, v143
	;; [unrolled: 1-line block ×3, first 2 shown]
	v_mul_f32_e32 v143, 0x3e750f2a, v154
	v_fmamk_f32 v146, v60, 0x3f7e222b, v158
	v_fma_f32 v145, 0x3df6dbef, v157, -v145
	v_fmac_f32_e32 v158, 0xbf7e222b, v60
	v_mul_f32_e32 v147, 0xbf788fa5, v61
	v_add_f32_e32 v161, v161, v165
	v_add_f32_e32 v163, v163, v167
	v_fmamk_f32 v160, v157, 0xbf788fa5, v143
	v_add_f32_e32 v145, v145, v148
	v_add_f32_e32 v148, v158, v150
	v_fmamk_f32 v150, v60, 0xbe750f2a, v147
	v_mul_f32_e32 v154, 0x3f52af12, v154
	v_mul_f32_e32 v61, 0x3f116cb1, v61
	v_fma_f32 v143, 0xbf788fa5, v157, -v143
	v_add_f32_e32 v153, v153, v161
	v_add_f32_e32 v159, v159, v163
	;; [unrolled: 1-line block ×5, first 2 shown]
	v_fmac_f32_e32 v147, 0x3e750f2a, v60
	v_fmamk_f32 v150, v157, 0x3f116cb1, v154
	v_fmamk_f32 v155, v60, 0xbf52af12, v61
	v_add_f32_e32 v143, v143, v151
	v_sub_f32_e32 v151, v63, v65
	v_add_f32_e32 v147, v147, v156
	v_add_f32_e32 v150, v150, v153
	v_add_f32_e32 v153, v155, v159
	v_add_f32_e32 v155, v64, v62
	v_mul_f32_e32 v156, 0xbf29c268, v151
	v_add_f32_e32 v63, v65, v63
	v_fma_f32 v65, 0x3f116cb1, v157, -v154
	v_fmac_f32_e32 v61, 0x3f52af12, v60
	v_sub_f32_e32 v60, v62, v64
	v_fmamk_f32 v62, v155, 0xbf3f9e67, v156
	v_mul_f32_e32 v64, 0xbf3f9e67, v63
	v_add_f32_e32 v65, v65, v67
	v_mul_f32_e32 v67, 0x3f7e222b, v151
	v_add_f32_e32 v61, v61, v69
	v_add_f32_e32 v62, v62, v68
	v_fmamk_f32 v68, v60, 0x3f29c268, v64
	v_fma_f32 v69, 0xbf3f9e67, v155, -v156
	v_fmac_f32_e32 v64, 0xbf29c268, v60
	v_fmamk_f32 v154, v155, 0x3df6dbef, v67
	v_mul_f32_e32 v156, 0x3df6dbef, v63
	v_add_f32_e32 v68, v68, v71
	v_add_f32_e32 v69, v69, v73
	;; [unrolled: 1-line block ×4, first 2 shown]
	v_fmamk_f32 v71, v60, 0xbf7e222b, v156
	v_mul_f32_e32 v73, 0xbf52af12, v151
	v_fma_f32 v67, 0x3df6dbef, v155, -v67
	v_fmac_f32_e32 v156, 0x3f7e222b, v60
	v_mul_f32_e32 v76, 0x3f116cb1, v63
	v_add_f32_e32 v154, v71, v72
	v_fmamk_f32 v71, v155, 0x3f116cb1, v73
	v_add_f32_e32 v67, v67, v70
	v_add_f32_e32 v70, v156, v75
	v_fmamk_f32 v72, v60, 0x3f52af12, v76
	v_mul_f32_e32 v75, 0x3e750f2a, v151
	v_add_f32_e32 v144, v71, v144
	v_fma_f32 v71, 0x3f116cb1, v155, -v73
	v_fmac_f32_e32 v76, 0xbf52af12, v60
	v_add_f32_e32 v130, v72, v130
	v_fmamk_f32 v72, v155, 0xbf788fa5, v75
	v_mul_f32_e32 v73, 0xbf788fa5, v63
	v_add_f32_e32 v77, v71, v77
	v_add_f32_e32 v156, v76, v74
	v_mul_f32_e32 v76, 0x3f62ad3f, v63
	v_add_f32_e32 v129, v72, v129
	v_fmamk_f32 v72, v60, 0xbe750f2a, v73
	v_fmac_f32_e32 v73, 0x3e750f2a, v60
	v_mul_f32_e32 v71, 0x3eedf032, v151
	v_fma_f32 v74, 0xbf788fa5, v155, -v75
	v_mul_f32_e32 v63, 0xbeb58ec6, v63
	v_add_f32_e32 v146, v72, v146
	v_add_f32_e32 v148, v73, v148
	v_fmamk_f32 v72, v60, 0xbeedf032, v76
	v_mul_f32_e32 v73, 0xbf6f5d39, v151
	v_sub_f32_e32 v151, v57, v59
	v_add_f32_e32 v59, v59, v57
	v_fmamk_f32 v75, v155, 0x3f62ad3f, v71
	v_add_f32_e32 v145, v74, v145
	v_fma_f32 v71, 0x3f62ad3f, v155, -v71
	v_fmac_f32_e32 v76, 0x3eedf032, v60
	v_add_f32_e32 v149, v72, v149
	v_fmamk_f32 v72, v155, 0xbeb58ec6, v73
	v_fmamk_f32 v74, v60, 0x3f6f5d39, v63
	v_add_f32_e32 v164, v58, v56
	v_mul_f32_e32 v57, 0xbe750f2a, v151
	v_fmac_f32_e32 v63, 0xbf6f5d39, v60
	v_sub_f32_e32 v58, v56, v58
	v_mul_f32_e32 v60, 0xbf788fa5, v59
	v_add_f32_e32 v143, v71, v143
	v_add_f32_e32 v150, v72, v150
	v_fma_f32 v71, 0xbeb58ec6, v155, -v73
	v_fmamk_f32 v56, v164, 0xbf788fa5, v57
	v_add_f32_e32 v61, v63, v61
	v_mul_f32_e32 v63, 0x3eedf032, v151
	v_fmamk_f32 v72, v58, 0x3e750f2a, v60
	v_add_f32_e32 v65, v71, v65
	v_add_f32_e32 v71, v56, v62
	v_fmac_f32_e32 v60, 0xbe750f2a, v58
	v_fmamk_f32 v62, v164, 0x3f62ad3f, v63
	v_add_f32_e32 v72, v72, v68
	v_mul_f32_e32 v68, 0x3f62ad3f, v59
	v_fma_f32 v56, 0xbf788fa5, v164, -v57
	v_add_f32_e32 v57, v60, v64
	v_add_f32_e32 v73, v62, v66
	v_mul_f32_e32 v60, 0xbf29c268, v151
	v_fmamk_f32 v62, v58, 0xbeedf032, v68
	v_fma_f32 v63, 0x3f62ad3f, v164, -v63
	v_mul_f32_e32 v64, 0xbf3f9e67, v59
	v_add_f32_e32 v160, v75, v152
	v_add_f32_e32 v165, v74, v153
	v_fmamk_f32 v66, v164, 0xbf3f9e67, v60
	v_add_f32_e32 v74, v62, v154
	v_add_f32_e32 v75, v63, v67
	v_fmamk_f32 v62, v58, 0x3f29c268, v64
	v_fma_f32 v60, 0xbf3f9e67, v164, -v60
	v_mul_f32_e32 v63, 0x3f52af12, v151
	v_fmac_f32_e32 v64, 0xbf29c268, v58
	v_add_f32_e32 v152, v66, v144
	v_add_f32_e32 v153, v62, v130
	;; [unrolled: 1-line block ×3, first 2 shown]
	v_fmamk_f32 v60, v164, 0x3f116cb1, v63
	v_add_f32_e32 v155, v64, v156
	v_add_f32_e32 v64, v34, v32
	v_mul_f32_e32 v62, 0x3f116cb1, v59
	v_fma_f32 v63, 0x3f116cb1, v164, -v63
	v_add_f32_e32 v156, v60, v129
	v_add_f32_e32 v60, v35, v33
	v_add_f32_e32 v64, v40, v64
	v_fmamk_f32 v66, v58, 0xbf52af12, v62
	v_add_f32_e32 v158, v63, v145
	v_fmac_f32_e32 v62, 0x3f52af12, v58
	v_add_f32_e32 v60, v41, v60
	v_add_f32_e32 v63, v42, v64
	v_mul_f32_e32 v64, 0xbf6f5d39, v151
	v_add_f32_e32 v157, v66, v146
	v_add_f32_e32 v159, v62, v148
	;; [unrolled: 1-line block ×4, first 2 shown]
	v_fmamk_f32 v63, v164, 0xbeb58ec6, v64
	v_mul_f32_e32 v66, 0xbeb58ec6, v59
	v_fma_f32 v64, 0xbeb58ec6, v164, -v64
	v_add_f32_e32 v60, v45, v60
	v_add_f32_e32 v62, v46, v62
	;; [unrolled: 1-line block ×3, first 2 shown]
	v_mul_f32_e32 v63, 0x3f7e222b, v151
	v_add_f32_e32 v147, v76, v147
	v_add_f32_e32 v60, v47, v60
	;; [unrolled: 1-line block ×3, first 2 shown]
	v_fmamk_f32 v67, v58, 0x3f6f5d39, v66
	v_add_f32_e32 v162, v64, v143
	v_fmac_f32_e32 v66, 0xbf6f5d39, v58
	v_add_f32_e32 v60, v53, v60
	v_add_f32_e32 v62, v54, v62
	v_mul_f32_e32 v59, 0x3df6dbef, v59
	v_fmamk_f32 v64, v164, 0x3df6dbef, v63
	v_fma_f32 v63, 0x3df6dbef, v164, -v63
	v_add_f32_e32 v60, v55, v60
	v_add_f32_e32 v62, v48, v62
	;; [unrolled: 1-line block ×3, first 2 shown]
	v_fmamk_f32 v66, v58, 0xbf7e222b, v59
	v_add_f32_e32 v166, v63, v65
	v_add_f32_e32 v60, v49, v60
	;; [unrolled: 1-line block ×3, first 2 shown]
	v_sub_f32_e32 v77, v35, v128
	v_sub_f32_e32 v65, v34, v127
	v_fmac_f32_e32 v68, 0x3eedf032, v58
	v_add_f32_e32 v164, v64, v150
	v_add_f32_e32 v165, v66, v165
	v_fmac_f32_e32 v59, 0x3f7e222b, v58
	v_add_f32_e32 v58, v51, v60
	v_add_f32_e32 v60, v36, v62
	;; [unrolled: 1-line block ×3, first 2 shown]
	v_mul_f32_e32 v62, 0xbeedf032, v77
	v_add_f32_e32 v143, v128, v35
	v_mul_f32_e32 v63, 0xbeedf032, v65
	v_sub_f32_e32 v129, v41, v39
	v_sub_f32_e32 v66, v40, v38
	v_add_f32_e32 v161, v67, v149
	v_add_f32_e32 v34, v37, v58
	;; [unrolled: 1-line block ×3, first 2 shown]
	v_fmamk_f32 v58, v64, 0x3f62ad3f, v62
	v_fma_f32 v60, 0x3f62ad3f, v143, -v63
	v_add_f32_e32 v40, v38, v40
	v_add_f32_e32 v146, v39, v41
	v_mul_f32_e32 v38, 0xbf52af12, v129
	v_mul_f32_e32 v41, 0xbf52af12, v66
	v_sub_f32_e32 v67, v42, v36
	v_add_f32_e32 v56, v56, v69
	v_add_f32_e32 v76, v68, v70
	;; [unrolled: 1-line block ×4, first 2 shown]
	v_sub_f32_e32 v130, v43, v37
	v_fmamk_f32 v68, v40, 0x3f116cb1, v38
	v_fma_f32 v69, 0x3f116cb1, v146, -v41
	v_add_f32_e32 v145, v37, v43
	v_mul_f32_e32 v37, 0xbf7e222b, v67
	v_add_f32_e32 v42, v36, v42
	v_mul_f32_e32 v36, 0xbf7e222b, v130
	v_add_f32_e32 v58, v68, v58
	v_add_f32_e32 v60, v69, v60
	v_sub_f32_e32 v144, v45, v51
	v_sub_f32_e32 v68, v44, v50
	v_fma_f32 v70, 0x3df6dbef, v145, -v37
	v_fmamk_f32 v69, v42, 0x3df6dbef, v36
	v_add_f32_e32 v44, v50, v44
	v_add_f32_e32 v148, v51, v45
	v_mul_f32_e32 v43, 0xbf6f5d39, v144
	v_mul_f32_e32 v45, 0xbf6f5d39, v68
	v_add_f32_e32 v51, v70, v60
	v_sub_f32_e32 v147, v47, v49
	v_sub_f32_e32 v70, v46, v48
	v_add_f32_e32 v50, v69, v58
	v_fmamk_f32 v58, v44, 0xbeb58ec6, v43
	v_fma_f32 v60, 0xbeb58ec6, v148, -v45
	v_add_f32_e32 v48, v48, v46
	v_mul_f32_e32 v46, 0xbf29c268, v147
	v_add_f32_e32 v150, v49, v47
	v_mul_f32_e32 v47, 0xbf29c268, v70
	v_sub_f32_e32 v149, v53, v55
	v_sub_f32_e32 v69, v52, v54
	v_add_f32_e32 v58, v58, v50
	v_add_f32_e32 v60, v60, v51
	v_fmamk_f32 v167, v48, 0xbf3f9e67, v46
	v_fma_f32 v168, 0xbf3f9e67, v150, -v47
	v_add_f32_e32 v50, v54, v52
	v_add_f32_e32 v151, v55, v53
	v_mul_f32_e32 v49, 0xbe750f2a, v149
	v_mul_f32_e32 v51, 0xbe750f2a, v69
	v_add_f32_e32 v34, v39, v34
	v_add_f32_e32 v39, v167, v58
	;; [unrolled: 1-line block ×3, first 2 shown]
	v_fmamk_f32 v53, v50, 0xbf788fa5, v49
	v_fma_f32 v54, 0xbf788fa5, v151, -v51
	v_add_f32_e32 v167, v59, v61
	v_add_f32_e32 v58, v127, v35
	;; [unrolled: 1-line block ×5, first 2 shown]
	s_barrier
	buffer_gl0_inv
	ds_write2_b64 v142, v[78:79], v[71:72] offset1:1
	ds_write2_b64 v142, v[73:74], v[152:153] offset0:2 offset1:3
	ds_write2_b64 v142, v[156:157], v[160:161] offset0:4 offset1:5
	ds_write2_b64 v142, v[164:165], v[166:167] offset0:6 offset1:7
	ds_write2_b64 v142, v[162:163], v[158:159] offset0:8 offset1:9
	ds_write2_b64 v142, v[154:155], v[75:76] offset0:10 offset1:11
	ds_write_b64 v142, v[56:57] offset:96
	s_and_saveexec_b32 s1, vcc_lo
	s_cbranch_execz .LBB0_17
; %bb.16:
	v_mul_f32_e32 v152, 0xbf788fa5, v143
	v_mul_f32_e32 v153, 0x3f62ad3f, v146
	;; [unrolled: 1-line block ×5, first 2 shown]
	v_fmamk_f32 v34, v65, 0x3e750f2a, v152
	v_fmamk_f32 v35, v66, 0xbeedf032, v153
	;; [unrolled: 1-line block ×3, first 2 shown]
	v_mul_f32_e32 v157, 0x3f116cb1, v148
	v_fmamk_f32 v79, v40, 0x3f62ad3f, v156
	v_add_f32_e32 v34, v33, v34
	v_mul_f32_e32 v158, 0xbf29c268, v130
	v_add_f32_e32 v78, v32, v78
	v_mul_f32_e32 v159, 0xbeb58ec6, v150
	v_mul_f32_e32 v160, 0x3f52af12, v144
	v_add_f32_e32 v34, v35, v34
	v_fmamk_f32 v35, v67, 0x3f29c268, v155
	v_add_f32_e32 v78, v79, v78
	v_fmamk_f32 v79, v42, 0xbf3f9e67, v158
	v_mul_f32_e32 v161, 0x3df6dbef, v151
	v_mul_f32_e32 v162, 0xbf6f5d39, v147
	v_add_f32_e32 v34, v35, v34
	v_fmamk_f32 v35, v68, 0xbf52af12, v157
	v_add_f32_e32 v78, v79, v78
	v_fmamk_f32 v79, v44, 0x3f116cb1, v160
	;; [unrolled: 6-line block ×4, first 2 shown]
	v_fmamk_f32 v128, v64, 0xbf3f9e67, v167
	v_mul_f32_e32 v169, 0x3f7e222b, v129
	v_add_f32_e32 v35, v35, v34
	v_fmamk_f32 v34, v65, 0x3f29c268, v163
	v_mul_f32_e32 v170, 0xbf788fa5, v148
	v_add_f32_e32 v128, v32, v128
	;; [unrolled: 3-line block ×3, first 2 shown]
	v_mul_f32_e32 v172, 0x3f62ad3f, v150
	v_mul_f32_e32 v166, 0x3f7e222b, v149
	v_add_f32_e32 v128, v142, v128
	v_fmamk_f32 v142, v42, 0x3f116cb1, v171
	v_add_f32_e32 v34, v79, v34
	v_fmamk_f32 v79, v67, 0x3f52af12, v168
	v_mul_f32_e32 v173, 0x3e750f2a, v144
	v_mul_f32_e32 v174, 0xbeb58ec6, v151
	v_fmamk_f32 v127, v50, 0x3df6dbef, v166
	v_add_f32_e32 v128, v142, v128
	v_add_f32_e32 v34, v79, v34
	v_fmamk_f32 v79, v68, 0xbe750f2a, v170
	v_fmamk_f32 v142, v44, 0xbf788fa5, v173
	v_mul_f32_e32 v175, 0x3eedf032, v147
	v_fmamk_f32 v176, v69, 0x3f6f5d39, v174
	v_mul_f32_e32 v177, 0xbeb58ec6, v143
	v_add_f32_e32 v34, v79, v34
	v_fmamk_f32 v79, v70, 0xbeedf032, v172
	v_add_f32_e32 v128, v142, v128
	v_fmamk_f32 v142, v48, 0x3f62ad3f, v175
	v_mul_f32_e32 v179, 0xbf6f5d39, v77
	v_mul_f32_e32 v180, 0x3f62ad3f, v145
	v_add_f32_e32 v79, v79, v34
	v_add_f32_e32 v34, v127, v78
	v_fmamk_f32 v78, v65, 0x3f6f5d39, v177
	v_add_f32_e32 v127, v142, v128
	v_fmamk_f32 v181, v64, 0xbeb58ec6, v179
	v_add_f32_e32 v79, v176, v79
	v_mul_f32_e32 v176, 0xbf3f9e67, v146
	v_add_f32_e32 v78, v33, v78
	v_mul_f32_e32 v182, 0x3f29c268, v129
	v_mul_f32_e32 v183, 0x3df6dbef, v148
	v_add_f32_e32 v181, v32, v181
	v_fmamk_f32 v128, v66, 0xbf29c268, v176
	v_mul_f32_e32 v185, 0x3eedf032, v130
	v_fmamk_f32 v184, v40, 0xbf3f9e67, v182
	v_mul_f32_e32 v186, 0xbf788fa5, v150
	v_mul_f32_e32 v178, 0xbf6f5d39, v149
	v_add_f32_e32 v78, v128, v78
	v_fmamk_f32 v128, v67, 0xbeedf032, v180
	v_add_f32_e32 v181, v184, v181
	v_fmamk_f32 v184, v42, 0x3f62ad3f, v185
	v_mul_f32_e32 v187, 0xbf7e222b, v144
	v_mul_f32_e32 v188, 0x3f116cb1, v151
	v_add_f32_e32 v78, v128, v78
	v_fmamk_f32 v128, v68, 0x3f7e222b, v183
	v_fmamk_f32 v142, v50, 0xbeb58ec6, v178
	v_add_f32_e32 v181, v184, v181
	v_fmamk_f32 v184, v44, 0x3df6dbef, v187
	v_mul_f32_e32 v189, 0x3e750f2a, v147
	v_add_f32_e32 v78, v128, v78
	v_fmamk_f32 v128, v70, 0xbe750f2a, v186
	v_fmamk_f32 v190, v69, 0xbf52af12, v188
	v_mul_f32_e32 v191, 0x3df6dbef, v143
	v_add_f32_e32 v181, v184, v181
	v_fmamk_f32 v184, v48, 0xbf788fa5, v189
	v_add_f32_e32 v128, v128, v78
	v_add_f32_e32 v78, v142, v127
	v_fmamk_f32 v127, v65, 0x3f7e222b, v191
	v_mul_f32_e32 v193, 0xbeb58ec6, v145
	v_add_f32_e32 v142, v184, v181
	v_add_f32_e32 v128, v190, v128
	v_mul_f32_e32 v190, 0xbf788fa5, v146
	v_mul_f32_e32 v184, 0xbf7e222b, v77
	v_add_f32_e32 v127, v33, v127
	v_mul_f32_e32 v196, 0xbe750f2a, v129
	v_mul_f32_e32 v197, 0x3f62ad3f, v148
	v_fmamk_f32 v192, v66, 0x3e750f2a, v190
	v_fmamk_f32 v195, v64, 0x3df6dbef, v184
	v_mul_f32_e32 v199, 0x3f6f5d39, v130
	v_fmamk_f32 v198, v40, 0xbf788fa5, v196
	v_mul_f32_e32 v200, 0x3f116cb1, v150
	v_add_f32_e32 v127, v192, v127
	v_fmamk_f32 v192, v67, 0xbf6f5d39, v193
	v_add_f32_e32 v195, v32, v195
	v_mul_f32_e32 v181, 0x3f52af12, v149
	v_mul_f32_e32 v201, 0x3eedf032, v144
	;; [unrolled: 1-line block ×3, first 2 shown]
	v_add_f32_e32 v127, v192, v127
	v_fmamk_f32 v192, v68, 0xbeedf032, v197
	v_add_f32_e32 v195, v198, v195
	v_fmamk_f32 v198, v42, 0xbeb58ec6, v199
	v_fmamk_f32 v194, v50, 0x3f116cb1, v181
	v_mul_f32_e32 v203, 0xbf52af12, v147
	v_add_f32_e32 v127, v192, v127
	v_fmamk_f32 v192, v70, 0x3f52af12, v200
	v_add_f32_e32 v195, v198, v195
	v_fmamk_f32 v198, v44, 0x3f62ad3f, v201
	v_fmamk_f32 v204, v69, 0x3f29c268, v202
	v_mul_f32_e32 v205, 0x3f116cb1, v143
	v_add_f32_e32 v192, v192, v127
	v_mul_f32_e32 v76, 0x3f62ad3f, v143
	v_add_f32_e32 v195, v198, v195
	v_fmamk_f32 v198, v48, 0x3f116cb1, v203
	v_add_f32_e32 v127, v194, v142
	v_add_f32_e32 v143, v204, v192
	v_fmamk_f32 v142, v65, 0x3f52af12, v205
	v_mul_f32_e32 v192, 0xbeb58ec6, v146
	v_mul_f32_e32 v54, 0x3f116cb1, v146
	v_add_f32_e32 v146, v198, v195
	v_mul_f32_e32 v77, 0xbf52af12, v77
	v_add_f32_e32 v142, v33, v142
	v_fmamk_f32 v195, v66, 0x3f6f5d39, v192
	v_mul_f32_e32 v198, 0xbf788fa5, v145
	v_mul_f32_e32 v72, 0xbeb58ec6, v148
	v_fmamk_f32 v204, v64, 0x3f116cb1, v77
	v_mul_f32_e32 v206, 0xbf6f5d39, v129
	v_add_f32_e32 v129, v195, v142
	v_fmamk_f32 v142, v67, 0x3e750f2a, v198
	v_mul_f32_e32 v148, 0xbf3f9e67, v148
	v_mul_f32_e32 v55, 0xbf3f9e67, v150
	v_add_f32_e32 v195, v32, v204
	v_fmamk_f32 v204, v40, 0xbeb58ec6, v206
	v_mul_f32_e32 v207, 0xbe750f2a, v130
	v_add_f32_e32 v129, v142, v129
	v_fmamk_f32 v130, v68, 0xbf29c268, v148
	v_mul_f32_e32 v150, 0x3df6dbef, v150
	v_mul_f32_e32 v164, 0xbf788fa5, v151
	;; [unrolled: 1-line block ×3, first 2 shown]
	v_add_f32_e32 v142, v204, v195
	v_fmamk_f32 v195, v42, 0xbf788fa5, v207
	v_mul_f32_e32 v204, 0x3f29c268, v144
	v_add_f32_e32 v129, v130, v129
	v_fmamk_f32 v130, v70, 0xbf7e222b, v150
	v_mul_f32_e32 v151, 0x3f62ad3f, v151
	v_mul_f32_e32 v74, 0x3df6dbef, v145
	v_fmamk_f32 v145, v50, 0xbf3f9e67, v194
	v_add_f32_e32 v144, v195, v142
	v_fmamk_f32 v195, v44, 0xbf3f9e67, v204
	v_mul_f32_e32 v208, 0x3f7e222b, v147
	v_add_f32_e32 v129, v130, v129
	v_fmamk_f32 v130, v69, 0xbeedf032, v151
	v_add_f32_e32 v142, v145, v146
	v_add_f32_e32 v144, v195, v144
	v_fmamk_f32 v145, v48, 0x3df6dbef, v208
	v_mul_f32_e32 v195, 0x3eedf032, v149
	v_fmac_f32_e32 v152, 0xbe750f2a, v65
	v_add_f32_e32 v130, v130, v129
	v_fma_f32 v129, 0xbf788fa5, v64, -v154
	v_add_f32_e32 v144, v145, v144
	v_fmamk_f32 v145, v50, 0x3f62ad3f, v195
	v_add_f32_e32 v146, v33, v152
	v_fmac_f32_e32 v153, 0x3eedf032, v66
	v_add_f32_e32 v147, v32, v129
	v_fma_f32 v149, 0x3f62ad3f, v40, -v156
	v_fmac_f32_e32 v163, 0xbf29c268, v65
	v_add_f32_e32 v129, v145, v144
	v_add_f32_e32 v144, v153, v146
	v_fmac_f32_e32 v155, 0xbf29c268, v67
	v_add_f32_e32 v145, v149, v147
	v_fma_f32 v146, 0xbf3f9e67, v42, -v158
	v_add_f32_e32 v147, v33, v163
	v_fmac_f32_e32 v165, 0x3f7e222b, v66
	v_add_f32_e32 v144, v155, v144
	v_fmac_f32_e32 v157, 0x3f52af12, v68
	v_add_f32_e32 v145, v146, v145
	v_fma_f32 v146, 0x3f116cb1, v44, -v160
	v_add_f32_e32 v147, v165, v147
	v_fmac_f32_e32 v168, 0xbf52af12, v67
	;; [unrolled: 6-line block ×4, first 2 shown]
	v_fma_f32 v152, 0xbf3f9e67, v64, -v167
	v_add_f32_e32 v145, v161, v144
	v_add_f32_e32 v144, v149, v146
	v_fmac_f32_e32 v177, 0xbf6f5d39, v65
	v_add_f32_e32 v146, v172, v147
	v_fmac_f32_e32 v174, 0xbf6f5d39, v69
	v_add_f32_e32 v149, v32, v152
	v_fma_f32 v152, 0x3df6dbef, v40, -v169
	v_add_f32_e32 v153, v33, v177
	v_fmac_f32_e32 v176, 0x3f29c268, v66
	v_add_f32_e32 v147, v174, v146
	v_fma_f32 v146, 0xbeb58ec6, v64, -v179
	v_add_f32_e32 v149, v152, v149
	v_fma_f32 v152, 0x3f116cb1, v42, -v171
	v_add_f32_e32 v153, v176, v153
	v_fmac_f32_e32 v180, 0x3eedf032, v67
	v_add_f32_e32 v146, v32, v146
	v_fma_f32 v154, 0xbf3f9e67, v40, -v182
	;; [unrolled: 6-line block ×4, first 2 shown]
	v_add_f32_e32 v149, v152, v149
	v_fma_f32 v152, 0xbeb58ec6, v50, -v178
	v_mul_f32_e32 v71, 0x3f62ad3f, v64
	v_add_f32_e32 v153, v186, v153
	v_fmac_f32_e32 v188, 0x3f52af12, v69
	v_add_f32_e32 v154, v154, v146
	v_fma_f32 v155, 0xbf788fa5, v48, -v189
	v_fmac_f32_e32 v191, 0xbf7e222b, v65
	v_add_f32_e32 v146, v152, v149
	v_fma_f32 v152, 0x3df6dbef, v64, -v184
	v_mul_f32_e32 v39, 0x3f116cb1, v40
	v_add_f32_e32 v149, v188, v153
	v_add_f32_e32 v153, v155, v154
	;; [unrolled: 1-line block ×3, first 2 shown]
	v_fmac_f32_e32 v190, 0xbe750f2a, v66
	v_add_f32_e32 v152, v32, v152
	v_fma_f32 v155, 0xbf788fa5, v40, -v196
	v_fmac_f32_e32 v205, 0xbf52af12, v65
	v_fma_f32 v64, 0x3f116cb1, v64, -v77
	v_add_f32_e32 v63, v63, v76
	v_sub_f32_e32 v62, v71, v62
	v_mul_f32_e32 v73, 0x3df6dbef, v42
	v_add_f32_e32 v65, v190, v154
	v_fmac_f32_e32 v193, 0x3f6f5d39, v67
	v_add_f32_e32 v152, v155, v152
	v_fma_f32 v154, 0xbeb58ec6, v42, -v199
	v_add_f32_e32 v155, v33, v205
	v_fmac_f32_e32 v192, 0xbf6f5d39, v66
	v_add_f32_e32 v64, v32, v64
	v_fma_f32 v40, 0xbeb58ec6, v40, -v206
	v_add_f32_e32 v33, v33, v63
	v_add_f32_e32 v41, v41, v54
	v_add_f32_e32 v32, v32, v62
	v_sub_f32_e32 v38, v39, v38
	v_mul_f32_e32 v53, 0xbeb58ec6, v44
	v_add_f32_e32 v65, v193, v65
	v_fmac_f32_e32 v197, 0x3eedf032, v68
	v_add_f32_e32 v66, v154, v152
	v_fma_f32 v152, 0x3f62ad3f, v44, -v201
	v_add_f32_e32 v154, v192, v155
	v_fmac_f32_e32 v198, 0xbe750f2a, v67
	v_add_f32_e32 v39, v40, v64
	v_fma_f32 v40, 0xbf788fa5, v42, -v207
	v_add_f32_e32 v33, v41, v33
	v_add_f32_e32 v37, v37, v74
	;; [unrolled: 13-line block ×4, first 2 shown]
	v_add_f32_e32 v32, v36, v32
	v_sub_f32_e32 v36, v52, v46
	v_fma_f32 v156, 0x3f116cb1, v50, -v181
	v_add_f32_e32 v66, v202, v65
	v_add_f32_e32 v65, v68, v67
	;; [unrolled: 1-line block ×3, first 2 shown]
	v_fmac_f32_e32 v151, 0x3eedf032, v69
	v_add_f32_e32 v38, v39, v38
	v_fma_f32 v39, 0x3f62ad3f, v50, -v195
	v_add_f32_e32 v37, v37, v33
	v_add_f32_e32 v40, v51, v164
	;; [unrolled: 1-line block ×3, first 2 shown]
	v_sub_f32_e32 v41, v75, v49
	v_lshl_add_u32 v42, v137, 3, v133
	v_add_f32_e32 v148, v156, v153
	v_add_f32_e32 v33, v151, v67
	;; [unrolled: 1-line block ×5, first 2 shown]
	ds_write2_b64 v42, v[58:59], v[60:61] offset1:1
	ds_write2_b64 v42, v[129:130], v[142:143] offset0:2 offset1:3
	ds_write2_b64 v42, v[127:128], v[78:79] offset0:4 offset1:5
	;; [unrolled: 1-line block ×5, first 2 shown]
	ds_write_b64 v42, v[36:37] offset:96
.LBB0_17:
	s_or_b32 exec_lo, exec_lo, s1
	v_add_nc_u32_e32 v40, 0x800, v131
	s_waitcnt lgkmcnt(0)
	s_barrier
	buffer_gl0_inv
	ds_read2_b64 v[36:39], v131 offset1:39
	ds_read2_b64 v[52:55], v131 offset0:182 offset1:221
	ds_read2_b64 v[48:51], v40 offset0:108 offset1:147
	;; [unrolled: 1-line block ×5, first 2 shown]
	s_and_saveexec_b32 s1, s0
	s_cbranch_execz .LBB0_19
; %bb.18:
	v_add_nc_u32_e32 v56, 0x400, v131
	ds_read2_b64 v[56:59], v56 offset0:28 offset1:210
	ds_read_b64 v[60:61], v131 offset:4160
.LBB0_19:
	s_or_b32 exec_lo, exec_lo, s1
	s_waitcnt lgkmcnt(3)
	v_mul_f32_e32 v65, v31, v49
	v_mul_f32_e32 v31, v31, v48
	;; [unrolled: 1-line block ×4, first 2 shown]
	v_add_nc_u32_e32 v62, 0x618, v131
	v_fmac_f32_e32 v65, v30, v48
	v_fma_f32 v30, v30, v49, -v31
	s_waitcnt lgkmcnt(1)
	v_mul_f32_e32 v48, v17, v45
	s_waitcnt lgkmcnt(0)
	v_mul_f32_e32 v49, v19, v41
	v_mul_f32_e32 v19, v19, v40
	v_fmac_f32_e32 v63, v28, v52
	v_fma_f32 v28, v28, v53, -v64
	v_mul_f32_e32 v52, v21, v55
	v_mul_f32_e32 v21, v21, v54
	;; [unrolled: 1-line block ×5, first 2 shown]
	v_fmac_f32_e32 v48, v16, v44
	v_mul_f32_e32 v44, v5, v47
	v_fmac_f32_e32 v49, v18, v40
	v_mul_f32_e32 v5, v5, v46
	v_fma_f32 v40, v18, v41, -v19
	v_mul_f32_e32 v41, v7, v43
	v_mul_f32_e32 v7, v7, v42
	v_fmac_f32_e32 v52, v20, v54
	v_fma_f32 v20, v20, v55, -v21
	v_fmac_f32_e32 v31, v22, v50
	v_fma_f32 v21, v22, v51, -v23
	v_fma_f32 v23, v16, v45, -v17
	v_fmac_f32_e32 v44, v4, v46
	v_fma_f32 v45, v4, v47, -v5
	v_add_f32_e32 v4, v63, v65
	v_fmac_f32_e32 v41, v6, v42
	v_add_f32_e32 v5, v36, v63
	v_fma_f32 v42, v6, v43, -v7
	v_add_f32_e32 v7, v28, v30
	v_add_f32_e32 v18, v37, v28
	v_fma_f32 v4, -0.5, v4, v36
	v_sub_f32_e32 v17, v28, v30
	v_add_f32_e32 v6, v5, v65
	v_fma_f32 v5, -0.5, v7, v37
	v_sub_f32_e32 v19, v63, v65
	v_add_f32_e32 v7, v18, v30
	v_add_f32_e32 v18, v52, v31
	;; [unrolled: 1-line block ×3, first 2 shown]
	v_fmamk_f32 v16, v17, 0xbf5db3d7, v4
	v_fmac_f32_e32 v4, 0x3f5db3d7, v17
	v_fmamk_f32 v17, v19, 0x3f5db3d7, v5
	v_fmac_f32_e32 v5, 0xbf5db3d7, v19
	v_add_f32_e32 v19, v20, v21
	v_fma_f32 v38, -0.5, v18, v38
	v_sub_f32_e32 v28, v20, v21
	v_add_f32_e32 v18, v22, v31
	v_add_f32_e32 v22, v39, v20
	v_fmac_f32_e32 v39, -0.5, v19
	v_sub_f32_e32 v30, v52, v31
	v_fmamk_f32 v20, v28, 0xbf5db3d7, v38
	v_fmac_f32_e32 v38, 0x3f5db3d7, v28
	v_add_f32_e32 v19, v22, v21
	v_add_f32_e32 v22, v48, v49
	;; [unrolled: 1-line block ×3, first 2 shown]
	v_fmamk_f32 v21, v30, 0x3f5db3d7, v39
	v_fmac_f32_e32 v39, 0xbf5db3d7, v30
	v_add_f32_e32 v31, v23, v40
	v_fma_f32 v22, -0.5, v22, v32
	v_sub_f32_e32 v36, v23, v40
	v_add_f32_e32 v30, v28, v49
	v_add_f32_e32 v28, v33, v23
	v_fma_f32 v23, -0.5, v31, v33
	v_sub_f32_e32 v37, v48, v49
	v_fmamk_f32 v32, v36, 0xbf5db3d7, v22
	v_fmac_f32_e32 v22, 0x3f5db3d7, v36
	v_add_f32_e32 v31, v28, v40
	v_add_f32_e32 v28, v44, v41
	;; [unrolled: 1-line block ×3, first 2 shown]
	v_add_nc_u32_e32 v29, 0x750, v131
	v_fmamk_f32 v33, v37, 0x3f5db3d7, v23
	v_fmac_f32_e32 v23, 0xbf5db3d7, v37
	v_add_f32_e32 v37, v34, v44
	v_fma_f32 v34, -0.5, v28, v34
	v_sub_f32_e32 v28, v45, v42
	v_add_f32_e32 v43, v35, v45
	v_fmac_f32_e32 v35, -0.5, v36
	v_sub_f32_e32 v44, v44, v41
	v_add_f32_e32 v36, v37, v41
	v_fmamk_f32 v40, v28, 0xbf5db3d7, v34
	v_fmac_f32_e32 v34, 0x3f5db3d7, v28
	v_add_f32_e32 v37, v43, v42
	v_fmamk_f32 v41, v44, 0x3f5db3d7, v35
	v_fmac_f32_e32 v35, 0xbf5db3d7, v44
	s_barrier
	buffer_gl0_inv
	ds_write2_b64 v141, v[6:7], v[16:17] offset1:13
	ds_write_b64 v141, v[4:5] offset:208
	ds_write2_b64 v140, v[18:19], v[20:21] offset1:13
	ds_write_b64 v140, v[38:39] offset:208
	;; [unrolled: 2-line block ×4, first 2 shown]
	s_and_saveexec_b32 s1, s0
	s_cbranch_execz .LBB0_21
; %bb.20:
	v_mul_f32_e32 v4, v1, v58
	v_mul_f32_e32 v5, v3, v60
	;; [unrolled: 1-line block ×4, first 2 shown]
	v_fma_f32 v3, v0, v59, -v4
	v_fma_f32 v4, v2, v61, -v5
	v_fmac_f32_e32 v6, v0, v58
	v_fmac_f32_e32 v7, v2, v60
	v_mov_b32_e32 v0, 39
	v_add_f32_e32 v18, v3, v57
	v_add_f32_e32 v1, v4, v3
	v_sub_f32_e32 v17, v3, v4
	v_add_f32_e32 v2, v7, v6
	v_mul_u32_u24_sdwa v5, v135, v0 dst_sel:DWORD dst_unused:UNUSED_PAD src0_sel:WORD_0 src1_sel:DWORD
	v_sub_f32_e32 v16, v6, v7
	v_fma_f32 v1, -0.5, v1, v57
	v_add_f32_e32 v6, v56, v6
	v_fma_f32 v0, -0.5, v2, v56
	v_add_nc_u32_sdwa v19, v5, v136 dst_sel:DWORD dst_unused:UNUSED_PAD src0_sel:DWORD src1_sel:BYTE_0
	v_add_f32_e32 v5, v4, v18
	v_fmamk_f32 v3, v16, 0xbf5db3d7, v1
	v_fmac_f32_e32 v1, 0x3f5db3d7, v16
	v_fmamk_f32 v2, v17, 0x3f5db3d7, v0
	v_fmac_f32_e32 v0, 0xbf5db3d7, v17
	v_add_f32_e32 v4, v7, v6
	v_lshl_add_u32 v6, v19, 3, v133
	ds_write2_b64 v6, v[4:5], v[0:1] offset1:13
	ds_write_b64 v6, v[2:3] offset:208
.LBB0_21:
	s_or_b32 exec_lo, exec_lo, s1
	s_waitcnt lgkmcnt(0)
	s_barrier
	buffer_gl0_inv
	ds_read2_b64 v[4:7], v131 offset0:78 offset1:117
	ds_read2_b64 v[16:19], v131 offset0:156 offset1:195
	v_add_nc_u32_e32 v3, 0x400, v131
	v_add_nc_u32_e32 v2, 0x800, v131
	ds_read2_b64 v[20:23], v3 offset0:106 offset1:145
	ds_read2_b64 v[30:33], v2 offset0:56 offset1:95
	;; [unrolled: 1-line block ×4, first 2 shown]
	ds_read2_b64 v[42:45], v131 offset1:39
	s_waitcnt lgkmcnt(0)
	s_barrier
	buffer_gl0_inv
	s_mov_b32 s4, 0x1e01e01e
	s_mov_b32 s5, 0x3f5e01e0
	s_mul_hi_u32 s1, s8, 42
	v_mul_f32_e32 v0, v25, v5
	v_mul_f32_e32 v1, v25, v4
	;; [unrolled: 1-line block ×4, first 2 shown]
	v_fmac_f32_e32 v0, v24, v4
	v_fma_f32 v1, v24, v5, -v1
	v_fma_f32 v4, v26, v17, -v46
	v_mul_f32_e32 v5, v13, v21
	v_mul_f32_e32 v46, v15, v30
	v_fmac_f32_e32 v28, v26, v16
	v_mul_f32_e32 v16, v13, v20
	v_mul_f32_e32 v17, v15, v31
	v_fmac_f32_e32 v5, v12, v20
	v_fma_f32 v20, v14, v31, -v46
	v_mul_f32_e32 v31, v25, v7
	v_mul_f32_e32 v25, v25, v6
	;; [unrolled: 1-line block ×4, first 2 shown]
	v_fma_f32 v16, v12, v21, -v16
	v_fmac_f32_e32 v17, v14, v30
	v_mul_f32_e32 v21, v11, v39
	v_mul_f32_e32 v30, v11, v38
	v_fmac_f32_e32 v31, v24, v6
	v_fma_f32 v24, v24, v7, -v25
	v_mul_f32_e32 v25, v27, v19
	v_mul_f32_e32 v6, v27, v18
	;; [unrolled: 1-line block ×4, first 2 shown]
	v_fmac_f32_e32 v47, v8, v34
	v_fma_f32 v34, v8, v35, -v48
	v_fmac_f32_e32 v21, v10, v38
	v_fma_f32 v30, v10, v39, -v30
	v_mul_f32_e32 v35, v15, v33
	v_fmac_f32_e32 v25, v26, v18
	v_fma_f32 v18, v26, v19, -v6
	v_fmac_f32_e32 v27, v12, v22
	v_fma_f32 v19, v12, v23, -v7
	v_mul_f32_e32 v6, v15, v32
	v_mul_f32_e32 v22, v9, v37
	;; [unrolled: 1-line block ×4, first 2 shown]
	v_fmac_f32_e32 v35, v14, v32
	v_mul_f32_e32 v23, v11, v41
	v_fma_f32 v26, v14, v33, -v6
	v_fmac_f32_e32 v22, v8, v36
	v_fma_f32 v32, v8, v37, -v7
	v_fma_f32 v33, v10, v41, -v9
	v_add_f32_e32 v6, v0, v21
	v_add_f32_e32 v7, v1, v30
	;; [unrolled: 1-line block ×4, first 2 shown]
	v_fmac_f32_e32 v23, v10, v40
	v_sub_f32_e32 v10, v28, v47
	v_sub_f32_e32 v4, v4, v34
	v_add_f32_e32 v11, v5, v17
	v_add_f32_e32 v12, v16, v20
	v_sub_f32_e32 v5, v17, v5
	v_sub_f32_e32 v13, v20, v16
	v_add_f32_e32 v14, v8, v6
	v_add_f32_e32 v15, v9, v7
	v_sub_f32_e32 v0, v0, v21
	v_sub_f32_e32 v1, v1, v30
	;; [unrolled: 1-line block ×8, first 2 shown]
	v_add_f32_e32 v20, v5, v10
	v_add_f32_e32 v21, v13, v4
	v_sub_f32_e32 v28, v5, v10
	v_sub_f32_e32 v30, v13, v4
	v_add_f32_e32 v11, v11, v14
	v_add_f32_e32 v12, v12, v15
	v_sub_f32_e32 v5, v0, v5
	v_sub_f32_e32 v13, v1, v13
	;; [unrolled: 1-line block ×4, first 2 shown]
	v_add_f32_e32 v14, v20, v0
	v_add_f32_e32 v15, v21, v1
	v_add_f32_e32 v0, v42, v11
	v_add_f32_e32 v1, v43, v12
	v_mul_f32_e32 v6, 0x3f4a47b2, v6
	v_mul_f32_e32 v7, 0x3f4a47b2, v7
	;; [unrolled: 1-line block ×8, first 2 shown]
	v_fmamk_f32 v11, v11, 0xbf955555, v0
	v_fmamk_f32 v12, v12, 0xbf955555, v1
	;; [unrolled: 1-line block ×4, first 2 shown]
	v_fma_f32 v20, 0x3f3bfb3b, v16, -v20
	v_fma_f32 v21, 0x3f3bfb3b, v17, -v21
	v_fma_f32 v6, 0xbf3bfb3b, v16, -v6
	v_fma_f32 v7, 0xbf3bfb3b, v17, -v7
	v_fmamk_f32 v16, v5, 0xbeae86e6, v28
	v_fmamk_f32 v17, v13, 0xbeae86e6, v30
	v_fma_f32 v28, 0xbf5ff5aa, v10, -v28
	v_fma_f32 v10, 0xbf5ff5aa, v4, -v30
	;; [unrolled: 1-line block ×4, first 2 shown]
	v_add_f32_e32 v34, v8, v11
	v_add_f32_e32 v36, v9, v12
	;; [unrolled: 1-line block ×4, first 2 shown]
	v_fmac_f32_e32 v16, 0xbee1c552, v14
	v_fmac_f32_e32 v17, 0xbee1c552, v15
	;; [unrolled: 1-line block ×4, first 2 shown]
	v_add_f32_e32 v37, v6, v11
	v_add_f32_e32 v38, v7, v12
	v_fmac_f32_e32 v13, 0xbee1c552, v15
	v_fmac_f32_e32 v30, 0xbee1c552, v14
	v_add_f32_e32 v4, v17, v34
	v_sub_f32_e32 v5, v36, v16
	v_sub_f32_e32 v8, v20, v10
	v_add_f32_e32 v9, v28, v21
	v_add_f32_e32 v10, v10, v20
	v_sub_f32_e32 v11, v21, v28
	v_sub_f32_e32 v14, v34, v17
	v_add_f32_e32 v15, v16, v36
	v_add_f32_e32 v16, v31, v23
	v_add_f32_e32 v17, v24, v33
	v_sub_f32_e32 v20, v31, v23
	v_sub_f32_e32 v21, v24, v33
	v_add_f32_e32 v23, v25, v22
	;; [unrolled: 5-line block ×3, first 2 shown]
	v_sub_f32_e32 v22, v25, v22
	v_sub_f32_e32 v18, v18, v32
	v_add_f32_e32 v25, v27, v35
	v_add_f32_e32 v28, v19, v26
	v_sub_f32_e32 v27, v35, v27
	v_sub_f32_e32 v19, v26, v19
	v_add_f32_e32 v26, v23, v16
	v_add_f32_e32 v30, v24, v17
	v_sub_f32_e32 v31, v23, v16
	v_sub_f32_e32 v32, v24, v17
	v_sub_f32_e32 v33, v16, v25
	v_sub_f32_e32 v34, v17, v28
	v_sub_f32_e32 v23, v25, v23
	v_sub_f32_e32 v24, v28, v24
	v_add_f32_e32 v16, v27, v22
	v_add_f32_e32 v17, v19, v18
	v_sub_f32_e32 v35, v27, v22
	v_sub_f32_e32 v36, v19, v18
	;; [unrolled: 1-line block ×3, first 2 shown]
	v_add_f32_e32 v25, v25, v26
	v_add_f32_e32 v26, v28, v30
	v_sub_f32_e32 v18, v18, v21
	v_sub_f32_e32 v27, v20, v27
	;; [unrolled: 1-line block ×3, first 2 shown]
	v_add_f32_e32 v20, v16, v20
	v_add_f32_e32 v21, v17, v21
	;; [unrolled: 1-line block ×4, first 2 shown]
	v_mul_f32_e32 v28, 0x3f4a47b2, v33
	v_mul_f32_e32 v30, 0x3f4a47b2, v34
	;; [unrolled: 1-line block ×8, first 2 shown]
	v_fmamk_f32 v25, v25, 0xbf955555, v16
	v_fmamk_f32 v26, v26, 0xbf955555, v17
	;; [unrolled: 1-line block ×4, first 2 shown]
	v_fma_f32 v33, 0x3f3bfb3b, v31, -v33
	v_fma_f32 v34, 0x3f3bfb3b, v32, -v34
	;; [unrolled: 1-line block ×4, first 2 shown]
	v_fmamk_f32 v31, v27, 0xbeae86e6, v35
	v_fmamk_f32 v32, v19, 0xbeae86e6, v36
	v_fma_f32 v35, 0xbf5ff5aa, v22, -v35
	v_fma_f32 v36, 0xbf5ff5aa, v18, -v36
	;; [unrolled: 1-line block ×4, first 2 shown]
	v_add_f32_e32 v38, v23, v25
	v_add_f32_e32 v39, v24, v26
	;; [unrolled: 1-line block ×6, first 2 shown]
	v_fmac_f32_e32 v31, 0xbee1c552, v20
	v_fmac_f32_e32 v32, 0xbee1c552, v21
	;; [unrolled: 1-line block ×6, first 2 shown]
	v_add_f32_e32 v18, v32, v38
	v_sub_f32_e32 v19, v39, v31
	v_add_f32_e32 v20, v37, v28
	v_sub_f32_e32 v21, v30, v27
	v_sub_f32_e32 v22, v24, v36
	v_add_f32_e32 v23, v35, v33
	v_add_f32_e32 v24, v36, v24
	v_sub_f32_e32 v25, v33, v35
	v_sub_f32_e32 v26, v28, v37
	v_add_f32_e32 v27, v27, v30
	v_sub_f32_e32 v30, v38, v32
	v_add_f32_e32 v31, v31, v39
	ds_write2_b64 v131, v[0:1], v[4:5] offset1:39
	ds_write2_b64 v131, v[6:7], v[8:9] offset0:78 offset1:117
	ds_write2_b64 v131, v[10:11], v[12:13] offset0:156 offset1:195
	;; [unrolled: 1-line block ×6, first 2 shown]
	s_waitcnt lgkmcnt(0)
	s_barrier
	buffer_gl0_inv
	ds_read2_b64 v[4:7], v3 offset0:106 offset1:145
	ds_read2_b64 v[8:11], v2 offset0:56 offset1:95
	;; [unrolled: 1-line block ×3, first 2 shown]
	ds_read2_b64 v[16:19], v131 offset1:39
	ds_read2_b64 v[20:23], v131 offset0:78 offset1:117
	ds_read2_b64 v[24:27], v2 offset0:212 offset1:251
	;; [unrolled: 1-line block ×3, first 2 shown]
	s_waitcnt lgkmcnt(6)
	v_mul_f32_e32 v0, v122, v7
	v_mul_f32_e32 v1, v122, v6
	s_waitcnt lgkmcnt(5)
	v_mul_f32_e32 v28, v126, v9
	v_mul_f32_e32 v34, v126, v8
	;; [unrolled: 1-line block ×3, first 2 shown]
	v_fmac_f32_e32 v0, v121, v6
	v_mul_f32_e32 v6, v118, v10
	v_fmac_f32_e32 v28, v125, v8
	s_waitcnt lgkmcnt(4)
	v_mul_f32_e32 v8, v124, v12
	v_fma_f32 v1, v121, v7, -v1
	v_fma_f32 v7, v125, v9, -v34
	;; [unrolled: 1-line block ×3, first 2 shown]
	v_mul_f32_e32 v6, v114, v14
	v_mul_f32_e32 v34, v124, v13
	;; [unrolled: 1-line block ×3, first 2 shown]
	s_waitcnt lgkmcnt(1)
	v_mul_f32_e32 v39, v120, v27
	v_fma_f32 v37, v123, v13, -v8
	v_fma_f32 v40, v113, v15, -v6
	v_mul_f32_e32 v6, v120, v26
	v_mul_f32_e32 v38, v116, v25
	;; [unrolled: 1-line block ×3, first 2 shown]
	v_fmac_f32_e32 v35, v117, v10
	v_fmac_f32_e32 v34, v123, v12
	;; [unrolled: 1-line block ×4, first 2 shown]
	v_sub_f32_e32 v0, v16, v0
	v_fma_f32 v27, v119, v27, -v6
	v_sub_f32_e32 v1, v17, v1
	v_sub_f32_e32 v6, v18, v28
	;; [unrolled: 1-line block ×3, first 2 shown]
	v_fmac_f32_e32 v38, v115, v24
	v_fma_f32 v25, v115, v25, -v8
	v_sub_f32_e32 v10, v20, v35
	v_sub_f32_e32 v11, v21, v11
	v_fma_f32 v8, v16, 2.0, -v0
	v_fma_f32 v9, v17, 2.0, -v1
	v_fma_f32 v12, v18, 2.0, -v6
	v_fma_f32 v13, v19, 2.0, -v7
	v_sub_f32_e32 v16, v22, v34
	v_sub_f32_e32 v17, v23, v37
	s_waitcnt lgkmcnt(0)
	v_sub_f32_e32 v18, v30, v36
	v_sub_f32_e32 v19, v31, v40
	;; [unrolled: 1-line block ×6, first 2 shown]
	v_add_nc_u32_e32 v28, 0x800, v134
	v_fma_f32 v14, v20, 2.0, -v10
	v_fma_f32 v15, v21, 2.0, -v11
	;; [unrolled: 1-line block ×10, first 2 shown]
	ds_write_b64 v131, v[8:9]
	ds_write2_b64 v28, v[0:1], v[6:7] offset0:17 offset1:56
	ds_write2_b64 v134, v[12:13], v[14:15] offset0:39 offset1:78
	;; [unrolled: 1-line block ×4, first 2 shown]
	ds_write_b64 v134, v[18:19] offset:3432
	ds_write_b64 v134, v[30:31] offset:1560
	;; [unrolled: 1-line block ×5, first 2 shown]
	s_waitcnt lgkmcnt(0)
	s_barrier
	buffer_gl0_inv
	ds_read2_b64 v[4:7], v131 offset1:42
	ds_read2_b64 v[8:11], v131 offset0:84 offset1:126
	v_mad_u64_u32 v[12:13], null, s10, v98, 0
	v_mad_u64_u32 v[16:17], null, s8, v132, 0
	s_waitcnt lgkmcnt(1)
	v_mul_f32_e32 v0, v110, v5
	v_mul_f32_e32 v1, v110, v4
	;; [unrolled: 1-line block ×4, first 2 shown]
	s_waitcnt lgkmcnt(0)
	v_mul_f32_e32 v22, v108, v9
	v_fmac_f32_e32 v0, v109, v4
	v_fma_f32 v4, v109, v5, -v1
	v_fmac_f32_e32 v18, v105, v6
	v_fma_f32 v6, v105, v7, -v19
	v_mul_f32_e32 v7, v108, v8
	v_cvt_f64_f32_e32 v[0:1], v0
	v_cvt_f64_f32_e32 v[4:5], v4
	v_fmac_f32_e32 v22, v107, v8
	v_cvt_f64_f32_e32 v[20:21], v6
	v_fma_f32 v6, v107, v9, -v7
	v_cvt_f64_f32_e32 v[18:19], v18
	v_mul_f32_e32 v25, v102, v10
	v_cvt_f64_f32_e32 v[8:9], v22
	v_mul_f64 v[0:1], v[0:1], s[4:5]
	v_mul_f64 v[14:15], v[4:5], s[4:5]
	v_cvt_f32_f64_e32 v0, v[0:1]
	v_mad_u64_u32 v[4:5], null, s11, v98, v[13:14]
	v_mov_b32_e32 v5, v17
	v_cvt_f32_f64_e32 v1, v[14:15]
	v_mul_f64 v[14:15], v[18:19], s[4:5]
	v_mul_f64 v[18:19], v[8:9], s[4:5]
	v_fma_f32 v8, v101, v11, -v25
	v_mad_u64_u32 v[22:23], null, s9, v132, v[5:6]
	v_mov_b32_e32 v13, v4
	v_cvt_f64_f32_e32 v[23:24], v6
	ds_read2_b64 v[4:7], v131 offset0:168 offset1:210
	v_lshlrev_b64 v[12:13], 3, v[12:13]
	v_mov_b32_e32 v17, v22
	v_mul_f32_e32 v22, v102, v11
	v_add_co_u32 v26, s0, s2, v12
	v_fmac_f32_e32 v22, v101, v10
	v_add_co_ci_u32_e64 v27, s0, s3, v13, s0
	v_lshlrev_b64 v[12:13], 3, v[16:17]
	v_mul_f64 v[16:17], v[20:21], s[4:5]
	s_waitcnt lgkmcnt(0)
	v_mul_f32_e32 v10, v104, v4
	v_mul_f32_e32 v9, v104, v5
	v_mul_f64 v[20:21], v[23:24], s[4:5]
	v_cvt_f64_f32_e32 v[24:25], v8
	v_cvt_f64_f32_e32 v[22:23], v22
	v_fma_f32 v8, v103, v5, -v10
	v_fmac_f32_e32 v9, v103, v4
	v_add_co_u32 v4, s0, v26, v12
	v_add_co_ci_u32_e64 v5, s0, v27, v13, s0
	v_cvt_f64_f32_e32 v[26:27], v8
	v_cvt_f64_f32_e32 v[12:13], v9
	ds_read2_b64 v[8:11], v3 offset0:124 offset1:166
	global_store_dwordx2 v[4:5], v[0:1], off
	v_cvt_f32_f64_e32 v0, v[14:15]
	v_cvt_f32_f64_e32 v14, v[18:19]
	v_cvt_f32_f64_e32 v1, v[16:17]
	s_mul_i32 s0, s9, 42
	s_add_i32 s1, s1, s0
	s_mul_i32 s0, s8, 42
	s_lshl_b64 s[2:3], s[0:1], 3
	v_cvt_f32_f64_e32 v15, v[20:21]
	v_mul_f64 v[18:19], v[24:25], s[4:5]
	v_mul_f32_e32 v24, v97, v7
	v_mul_f64 v[16:17], v[22:23], s[4:5]
	v_add_co_u32 v4, s0, v4, s2
	v_add_co_ci_u32_e64 v5, s0, s3, v5, s0
	v_fmac_f32_e32 v24, v96, v6
	v_mul_f64 v[20:21], v[26:27], s[4:5]
	v_mul_f32_e32 v6, v97, v6
	s_waitcnt lgkmcnt(0)
	v_mul_f32_e32 v26, v100, v9
	v_mul_f32_e32 v27, v100, v8
	v_mul_f64 v[12:13], v[12:13], s[4:5]
	v_add_co_u32 v22, s0, v4, s2
	v_fma_f32 v6, v96, v7, -v6
	v_fmac_f32_e32 v26, v99, v8
	v_fma_f32 v7, v99, v9, -v27
	v_add_co_ci_u32_e64 v23, s0, s3, v5, s0
	v_mul_f32_e32 v28, v91, v11
	v_cvt_f64_f32_e32 v[8:9], v26
	v_cvt_f64_f32_e32 v[26:27], v7
	global_store_dwordx2 v[4:5], v[0:1], off
	v_cvt_f64_f32_e32 v[0:1], v6
	ds_read2_b64 v[4:7], v2 offset0:80 offset1:122
	global_store_dwordx2 v[22:23], v[14:15], off
	v_cvt_f32_f64_e32 v16, v[16:17]
	v_cvt_f32_f64_e32 v17, v[18:19]
	v_add_co_u32 v18, s0, v22, s2
	v_mul_f32_e32 v29, v91, v10
	v_fmac_f32_e32 v28, v90, v10
	v_cvt_f64_f32_e32 v[24:25], v24
	v_cvt_f32_f64_e32 v22, v[12:13]
	ds_read2_b64 v[12:15], v2 offset0:164 offset1:206
	v_fma_f32 v30, v90, v11, -v29
	v_add_co_ci_u32_e64 v19, s0, s3, v23, s0
	v_cvt_f32_f64_e32 v23, v[20:21]
	v_add_co_u32 v20, s0, v18, s2
	v_cvt_f64_f32_e32 v[30:31], v30
	v_mul_f64 v[8:9], v[8:9], s[4:5]
	v_mul_f64 v[10:11], v[26:27], s[4:5]
	v_cvt_f64_f32_e32 v[26:27], v28
	ds_read_b64 v[28:29], v131 offset:4032
	s_waitcnt lgkmcnt(2)
	v_mul_f32_e32 v32, v85, v5
	v_mul_f32_e32 v33, v85, v4
	v_mul_f64 v[0:1], v[0:1], s[4:5]
	v_mul_f32_e32 v34, v89, v7
	v_mul_f32_e32 v35, v89, v6
	v_fmac_f32_e32 v32, v84, v4
	v_fma_f32 v33, v84, v5, -v33
	v_add_co_ci_u32_e64 v21, s0, s3, v19, s0
	s_waitcnt lgkmcnt(1)
	v_mul_f32_e32 v36, v87, v13
	v_mul_f32_e32 v38, v93, v15
	;; [unrolled: 1-line block ×3, first 2 shown]
	v_fmac_f32_e32 v34, v88, v6
	v_fma_f32 v35, v88, v7, -v35
	v_fmac_f32_e32 v36, v86, v12
	v_mul_f32_e32 v12, v87, v12
	v_cvt_f64_f32_e32 v[4:5], v32
	v_cvt_f64_f32_e32 v[6:7], v33
	v_fmac_f32_e32 v38, v92, v14
	s_waitcnt lgkmcnt(0)
	v_mul_f32_e32 v40, v95, v29
	v_mul_f32_e32 v41, v95, v28
	v_fma_f32 v12, v86, v13, -v12
	v_fma_f32 v39, v92, v15, -v39
	v_mul_f64 v[24:25], v[24:25], s[4:5]
	v_fmac_f32_e32 v40, v94, v28
	v_fma_f32 v41, v94, v29, -v41
	v_cvt_f64_f32_e32 v[32:33], v34
	v_cvt_f64_f32_e32 v[34:35], v35
	;; [unrolled: 1-line block ×8, first 2 shown]
	global_store_dwordx2 v[18:19], v[16:17], off
	global_store_dwordx2 v[20:21], v[22:23], off
	v_cvt_f32_f64_e32 v17, v[0:1]
	v_mul_f64 v[0:1], v[26:27], s[4:5]
	v_mul_f64 v[18:19], v[30:31], s[4:5]
	;; [unrolled: 1-line block ×4, first 2 shown]
	v_cvt_f32_f64_e32 v8, v[8:9]
	v_cvt_f32_f64_e32 v9, v[10:11]
	v_add_co_u32 v20, s0, v20, s2
	v_add_co_ci_u32_e64 v21, s0, s3, v21, s0
	v_cvt_f32_f64_e32 v16, v[24:25]
	v_mul_f64 v[10:11], v[32:33], s[4:5]
	v_mul_f64 v[22:23], v[34:35], s[4:5]
	v_mul_f64 v[24:25], v[36:37], s[4:5]
	v_mul_f64 v[12:13], v[12:13], s[4:5]
	v_mul_f64 v[14:15], v[14:15], s[4:5]
	v_mul_f64 v[26:27], v[28:29], s[4:5]
	v_mul_f64 v[28:29], v[38:39], s[4:5]
	v_mul_f64 v[30:31], v[40:41], s[4:5]
	v_add_co_u32 v32, s0, v20, s2
	v_add_co_ci_u32_e64 v33, s0, s3, v21, s0
	v_cvt_f32_f64_e32 v0, v[0:1]
	v_cvt_f32_f64_e32 v1, v[18:19]
	v_add_co_u32 v18, s0, v32, s2
	v_add_co_ci_u32_e64 v19, s0, s3, v33, s0
	v_cvt_f32_f64_e32 v4, v[4:5]
	v_cvt_f32_f64_e32 v5, v[6:7]
	;; [unrolled: 4-line block ×3, first 2 shown]
	v_cvt_f32_f64_e32 v22, v[24:25]
	v_add_co_u32 v24, s0, v6, s2
	v_cvt_f32_f64_e32 v23, v[12:13]
	v_add_co_ci_u32_e64 v25, s0, s3, v7, s0
	v_cvt_f32_f64_e32 v12, v[14:15]
	v_cvt_f32_f64_e32 v13, v[26:27]
	;; [unrolled: 1-line block ×4, first 2 shown]
	global_store_dwordx2 v[20:21], v[16:17], off
	v_add_co_u32 v16, s0, v24, s2
	v_add_co_ci_u32_e64 v17, s0, s3, v25, s0
	global_store_dwordx2 v[32:33], v[8:9], off
	v_add_co_u32 v8, s0, v16, s2
	v_add_co_ci_u32_e64 v9, s0, s3, v17, s0
	global_store_dwordx2 v[18:19], v[0:1], off
	v_add_co_u32 v0, s0, v8, s2
	v_add_co_ci_u32_e64 v1, s0, s3, v9, s0
	global_store_dwordx2 v[6:7], v[4:5], off
	global_store_dwordx2 v[24:25], v[10:11], off
	;; [unrolled: 1-line block ×5, first 2 shown]
	s_and_b32 exec_lo, exec_lo, vcc_lo
	s_cbranch_execz .LBB0_23
; %bb.22:
	global_load_dwordx2 v[4:5], v[82:83], off offset:312
	ds_read_b64 v[6:7], v134 offset:312
	v_mad_u64_u32 v[0:1], null, 0xfffff178, s8, v[0:1]
	s_mul_i32 s0, s9, 0xfffff178
	s_sub_i32 s0, s0, s8
	v_add_nc_u32_e32 v1, s0, v1
	s_waitcnt vmcnt(0) lgkmcnt(0)
	v_mul_f32_e32 v8, v7, v5
	v_mul_f32_e32 v5, v6, v5
	v_fmac_f32_e32 v8, v6, v4
	v_fma_f32 v6, v4, v7, -v5
	v_cvt_f64_f32_e32 v[4:5], v8
	v_cvt_f64_f32_e32 v[6:7], v6
	v_mul_f64 v[4:5], v[4:5], s[4:5]
	v_mul_f64 v[6:7], v[6:7], s[4:5]
	v_cvt_f32_f64_e32 v4, v[4:5]
	v_cvt_f32_f64_e32 v5, v[6:7]
	global_store_dwordx2 v[0:1], v[4:5], off
	global_load_dwordx2 v[8:9], v[82:83], off offset:648
	ds_read2_b64 v[4:7], v131 offset0:81 offset1:123
	v_add_co_u32 v0, vcc_lo, v0, s2
	v_add_co_ci_u32_e32 v1, vcc_lo, s3, v1, vcc_lo
	s_waitcnt vmcnt(0) lgkmcnt(0)
	v_mul_f32_e32 v10, v5, v9
	v_mul_f32_e32 v9, v4, v9
	v_fmac_f32_e32 v10, v4, v8
	v_fma_f32 v8, v8, v5, -v9
	v_cvt_f64_f32_e32 v[4:5], v10
	v_cvt_f64_f32_e32 v[8:9], v8
	v_mul_f64 v[4:5], v[4:5], s[4:5]
	v_mul_f64 v[8:9], v[8:9], s[4:5]
	v_cvt_f32_f64_e32 v4, v[4:5]
	v_cvt_f32_f64_e32 v5, v[8:9]
	global_store_dwordx2 v[0:1], v[4:5], off
	global_load_dwordx2 v[4:5], v[82:83], off offset:984
	v_add_co_u32 v0, vcc_lo, v0, s2
	v_add_co_ci_u32_e32 v1, vcc_lo, s3, v1, vcc_lo
	s_waitcnt vmcnt(0)
	v_mul_f32_e32 v8, v7, v5
	v_mul_f32_e32 v5, v6, v5
	v_fmac_f32_e32 v8, v6, v4
	v_fma_f32 v6, v4, v7, -v5
	v_cvt_f64_f32_e32 v[4:5], v8
	v_cvt_f64_f32_e32 v[6:7], v6
	v_mul_f64 v[4:5], v[4:5], s[4:5]
	v_mul_f64 v[6:7], v[6:7], s[4:5]
	v_cvt_f32_f64_e32 v4, v[4:5]
	v_cvt_f32_f64_e32 v5, v[6:7]
	global_store_dwordx2 v[0:1], v[4:5], off
	global_load_dwordx2 v[8:9], v[82:83], off offset:1320
	ds_read2_b64 v[4:7], v131 offset0:165 offset1:207
	v_add_co_u32 v0, vcc_lo, v0, s2
	v_add_co_ci_u32_e32 v1, vcc_lo, s3, v1, vcc_lo
	s_waitcnt vmcnt(0) lgkmcnt(0)
	v_mul_f32_e32 v10, v5, v9
	v_mul_f32_e32 v9, v4, v9
	v_fmac_f32_e32 v10, v4, v8
	v_fma_f32 v8, v8, v5, -v9
	v_cvt_f64_f32_e32 v[4:5], v10
	v_cvt_f64_f32_e32 v[8:9], v8
	v_mul_f64 v[4:5], v[4:5], s[4:5]
	v_mul_f64 v[8:9], v[8:9], s[4:5]
	v_cvt_f32_f64_e32 v4, v[4:5]
	v_cvt_f32_f64_e32 v5, v[8:9]
	global_store_dwordx2 v[0:1], v[4:5], off
	global_load_dwordx2 v[4:5], v[82:83], off offset:1656
	v_add_co_u32 v0, vcc_lo, v0, s2
	v_add_co_ci_u32_e32 v1, vcc_lo, s3, v1, vcc_lo
	s_waitcnt vmcnt(0)
	;; [unrolled: 31-line block ×3, first 2 shown]
	v_mul_f32_e32 v7, v6, v4
	v_mul_f32_e32 v4, v5, v4
	v_fmac_f32_e32 v7, v5, v3
	v_fma_f32 v5, v3, v6, -v4
	v_cvt_f64_f32_e32 v[3:4], v7
	v_cvt_f64_f32_e32 v[5:6], v5
	v_mul_f64 v[3:4], v[3:4], s[4:5]
	v_mul_f64 v[5:6], v[5:6], s[4:5]
	v_cvt_f32_f64_e32 v3, v[3:4]
	v_cvt_f32_f64_e32 v4, v[5:6]
	global_store_dwordx2 v[0:1], v[3:4], off
	global_load_dwordx2 v[7:8], v[80:81], off offset:616
	ds_read2_b64 v[3:6], v2 offset0:77 offset1:119
	v_add_co_u32 v0, vcc_lo, v0, s2
	v_add_co_ci_u32_e32 v1, vcc_lo, s3, v1, vcc_lo
	s_waitcnt vmcnt(0) lgkmcnt(0)
	v_mul_f32_e32 v9, v4, v8
	v_mul_f32_e32 v8, v3, v8
	v_fmac_f32_e32 v9, v3, v7
	v_fma_f32 v7, v7, v4, -v8
	v_cvt_f64_f32_e32 v[3:4], v9
	v_cvt_f64_f32_e32 v[7:8], v7
	v_mul_f64 v[3:4], v[3:4], s[4:5]
	v_mul_f64 v[7:8], v[7:8], s[4:5]
	v_cvt_f32_f64_e32 v3, v[3:4]
	v_cvt_f32_f64_e32 v4, v[7:8]
	global_store_dwordx2 v[0:1], v[3:4], off
	global_load_dwordx2 v[3:4], v[80:81], off offset:952
	s_waitcnt vmcnt(0)
	v_mul_f32_e32 v7, v6, v4
	v_mul_f32_e32 v4, v5, v4
	v_fmac_f32_e32 v7, v5, v3
	v_fma_f32 v5, v3, v6, -v4
	v_cvt_f64_f32_e32 v[3:4], v7
	v_cvt_f64_f32_e32 v[5:6], v5
	v_mul_f64 v[3:4], v[3:4], s[4:5]
	v_mul_f64 v[5:6], v[5:6], s[4:5]
	v_cvt_f32_f64_e32 v3, v[3:4]
	v_cvt_f32_f64_e32 v4, v[5:6]
	v_add_co_u32 v5, vcc_lo, v0, s2
	v_add_co_ci_u32_e32 v6, vcc_lo, s3, v1, vcc_lo
	global_store_dwordx2 v[5:6], v[3:4], off
	global_load_dwordx2 v[7:8], v[80:81], off offset:1288
	ds_read2_b64 v[0:3], v2 offset0:161 offset1:203
	s_waitcnt vmcnt(0) lgkmcnt(0)
	v_mul_f32_e32 v4, v1, v8
	v_mul_f32_e32 v8, v0, v8
	v_fmac_f32_e32 v4, v0, v7
	v_fma_f32 v7, v7, v1, -v8
	v_cvt_f64_f32_e32 v[0:1], v4
	v_cvt_f64_f32_e32 v[7:8], v7
	v_add_co_u32 v4, vcc_lo, v5, s2
	v_add_co_ci_u32_e32 v5, vcc_lo, s3, v6, vcc_lo
	v_mul_f64 v[0:1], v[0:1], s[4:5]
	v_mul_f64 v[7:8], v[7:8], s[4:5]
	v_cvt_f32_f64_e32 v0, v[0:1]
	v_cvt_f32_f64_e32 v1, v[7:8]
	global_store_dwordx2 v[4:5], v[0:1], off
	global_load_dwordx2 v[0:1], v[80:81], off offset:1624
	v_add_co_u32 v4, vcc_lo, v4, s2
	v_add_co_ci_u32_e32 v5, vcc_lo, s3, v5, vcc_lo
	s_waitcnt vmcnt(0)
	v_mul_f32_e32 v6, v3, v1
	v_mul_f32_e32 v1, v2, v1
	v_fmac_f32_e32 v6, v2, v0
	v_fma_f32 v2, v0, v3, -v1
	v_cvt_f64_f32_e32 v[0:1], v6
	v_cvt_f64_f32_e32 v[2:3], v2
	v_mul_f64 v[0:1], v[0:1], s[4:5]
	v_mul_f64 v[2:3], v[2:3], s[4:5]
	v_cvt_f32_f64_e32 v0, v[0:1]
	v_cvt_f32_f64_e32 v1, v[2:3]
	global_store_dwordx2 v[4:5], v[0:1], off
	global_load_dwordx2 v[6:7], v[80:81], off offset:1960
	v_add_nc_u32_e32 v0, 0xc00, v131
	v_add_co_u32 v4, vcc_lo, v4, s2
	v_add_co_ci_u32_e32 v5, vcc_lo, s3, v5, vcc_lo
	ds_read2_b64 v[0:3], v0 offset0:117 offset1:159
	s_waitcnt vmcnt(0) lgkmcnt(0)
	v_mul_f32_e32 v8, v1, v7
	v_mul_f32_e32 v7, v0, v7
	v_fmac_f32_e32 v8, v0, v6
	v_fma_f32 v6, v6, v1, -v7
	v_cvt_f64_f32_e32 v[0:1], v8
	v_cvt_f64_f32_e32 v[6:7], v6
	v_mul_f64 v[0:1], v[0:1], s[4:5]
	v_mul_f64 v[6:7], v[6:7], s[4:5]
	v_cvt_f32_f64_e32 v0, v[0:1]
	v_cvt_f32_f64_e32 v1, v[6:7]
	global_store_dwordx2 v[4:5], v[0:1], off
	global_load_dwordx2 v[0:1], v[111:112], off offset:248
	s_waitcnt vmcnt(0)
	v_mul_f32_e32 v6, v3, v1
	v_mul_f32_e32 v1, v2, v1
	v_fmac_f32_e32 v6, v2, v0
	v_fma_f32 v2, v0, v3, -v1
	v_cvt_f64_f32_e32 v[0:1], v6
	v_cvt_f64_f32_e32 v[2:3], v2
	v_mul_f64 v[0:1], v[0:1], s[4:5]
	v_mul_f64 v[2:3], v[2:3], s[4:5]
	v_cvt_f32_f64_e32 v0, v[0:1]
	v_cvt_f32_f64_e32 v1, v[2:3]
	v_add_co_u32 v2, vcc_lo, v4, s2
	v_add_co_ci_u32_e32 v3, vcc_lo, s3, v5, vcc_lo
	global_store_dwordx2 v[2:3], v[0:1], off
.LBB0_23:
	s_endpgm
	.section	.rodata,"a",@progbits
	.p2align	6, 0x0
	.amdhsa_kernel bluestein_single_fwd_len546_dim1_sp_op_CI_CI
		.amdhsa_group_segment_fixed_size 13104
		.amdhsa_private_segment_fixed_size 0
		.amdhsa_kernarg_size 104
		.amdhsa_user_sgpr_count 6
		.amdhsa_user_sgpr_private_segment_buffer 1
		.amdhsa_user_sgpr_dispatch_ptr 0
		.amdhsa_user_sgpr_queue_ptr 0
		.amdhsa_user_sgpr_kernarg_segment_ptr 1
		.amdhsa_user_sgpr_dispatch_id 0
		.amdhsa_user_sgpr_flat_scratch_init 0
		.amdhsa_user_sgpr_private_segment_size 0
		.amdhsa_wavefront_size32 1
		.amdhsa_uses_dynamic_stack 0
		.amdhsa_system_sgpr_private_segment_wavefront_offset 0
		.amdhsa_system_sgpr_workgroup_id_x 1
		.amdhsa_system_sgpr_workgroup_id_y 0
		.amdhsa_system_sgpr_workgroup_id_z 0
		.amdhsa_system_sgpr_workgroup_info 0
		.amdhsa_system_vgpr_workitem_id 0
		.amdhsa_next_free_vgpr 209
		.amdhsa_next_free_sgpr 16
		.amdhsa_reserve_vcc 1
		.amdhsa_reserve_flat_scratch 0
		.amdhsa_float_round_mode_32 0
		.amdhsa_float_round_mode_16_64 0
		.amdhsa_float_denorm_mode_32 3
		.amdhsa_float_denorm_mode_16_64 3
		.amdhsa_dx10_clamp 1
		.amdhsa_ieee_mode 1
		.amdhsa_fp16_overflow 0
		.amdhsa_workgroup_processor_mode 1
		.amdhsa_memory_ordered 1
		.amdhsa_forward_progress 0
		.amdhsa_shared_vgpr_count 0
		.amdhsa_exception_fp_ieee_invalid_op 0
		.amdhsa_exception_fp_denorm_src 0
		.amdhsa_exception_fp_ieee_div_zero 0
		.amdhsa_exception_fp_ieee_overflow 0
		.amdhsa_exception_fp_ieee_underflow 0
		.amdhsa_exception_fp_ieee_inexact 0
		.amdhsa_exception_int_div_zero 0
	.end_amdhsa_kernel
	.text
.Lfunc_end0:
	.size	bluestein_single_fwd_len546_dim1_sp_op_CI_CI, .Lfunc_end0-bluestein_single_fwd_len546_dim1_sp_op_CI_CI
                                        ; -- End function
	.section	.AMDGPU.csdata,"",@progbits
; Kernel info:
; codeLenInByte = 23036
; NumSgprs: 18
; NumVgprs: 209
; ScratchSize: 0
; MemoryBound: 0
; FloatMode: 240
; IeeeMode: 1
; LDSByteSize: 13104 bytes/workgroup (compile time only)
; SGPRBlocks: 2
; VGPRBlocks: 26
; NumSGPRsForWavesPerEU: 18
; NumVGPRsForWavesPerEU: 209
; Occupancy: 4
; WaveLimiterHint : 1
; COMPUTE_PGM_RSRC2:SCRATCH_EN: 0
; COMPUTE_PGM_RSRC2:USER_SGPR: 6
; COMPUTE_PGM_RSRC2:TRAP_HANDLER: 0
; COMPUTE_PGM_RSRC2:TGID_X_EN: 1
; COMPUTE_PGM_RSRC2:TGID_Y_EN: 0
; COMPUTE_PGM_RSRC2:TGID_Z_EN: 0
; COMPUTE_PGM_RSRC2:TIDIG_COMP_CNT: 0
	.text
	.p2alignl 6, 3214868480
	.fill 48, 4, 3214868480
	.type	__hip_cuid_cb0758097b35f2ca,@object ; @__hip_cuid_cb0758097b35f2ca
	.section	.bss,"aw",@nobits
	.globl	__hip_cuid_cb0758097b35f2ca
__hip_cuid_cb0758097b35f2ca:
	.byte	0                               ; 0x0
	.size	__hip_cuid_cb0758097b35f2ca, 1

	.ident	"AMD clang version 19.0.0git (https://github.com/RadeonOpenCompute/llvm-project roc-6.4.0 25133 c7fe45cf4b819c5991fe208aaa96edf142730f1d)"
	.section	".note.GNU-stack","",@progbits
	.addrsig
	.addrsig_sym __hip_cuid_cb0758097b35f2ca
	.amdgpu_metadata
---
amdhsa.kernels:
  - .args:
      - .actual_access:  read_only
        .address_space:  global
        .offset:         0
        .size:           8
        .value_kind:     global_buffer
      - .actual_access:  read_only
        .address_space:  global
        .offset:         8
        .size:           8
        .value_kind:     global_buffer
      - .actual_access:  read_only
        .address_space:  global
        .offset:         16
        .size:           8
        .value_kind:     global_buffer
      - .actual_access:  read_only
        .address_space:  global
        .offset:         24
        .size:           8
        .value_kind:     global_buffer
      - .actual_access:  read_only
        .address_space:  global
        .offset:         32
        .size:           8
        .value_kind:     global_buffer
      - .offset:         40
        .size:           8
        .value_kind:     by_value
      - .address_space:  global
        .offset:         48
        .size:           8
        .value_kind:     global_buffer
      - .address_space:  global
        .offset:         56
        .size:           8
        .value_kind:     global_buffer
      - .address_space:  global
        .offset:         64
        .size:           8
        .value_kind:     global_buffer
      - .address_space:  global
        .offset:         72
        .size:           8
        .value_kind:     global_buffer
      - .offset:         80
        .size:           4
        .value_kind:     by_value
      - .address_space:  global
        .offset:         88
        .size:           8
        .value_kind:     global_buffer
      - .address_space:  global
        .offset:         96
        .size:           8
        .value_kind:     global_buffer
    .group_segment_fixed_size: 13104
    .kernarg_segment_align: 8
    .kernarg_segment_size: 104
    .language:       OpenCL C
    .language_version:
      - 2
      - 0
    .max_flat_workgroup_size: 117
    .name:           bluestein_single_fwd_len546_dim1_sp_op_CI_CI
    .private_segment_fixed_size: 0
    .sgpr_count:     18
    .sgpr_spill_count: 0
    .symbol:         bluestein_single_fwd_len546_dim1_sp_op_CI_CI.kd
    .uniform_work_group_size: 1
    .uses_dynamic_stack: false
    .vgpr_count:     209
    .vgpr_spill_count: 0
    .wavefront_size: 32
    .workgroup_processor_mode: 1
amdhsa.target:   amdgcn-amd-amdhsa--gfx1030
amdhsa.version:
  - 1
  - 2
...

	.end_amdgpu_metadata
